;; amdgpu-corpus repo=zjin-lcf/HeCBench kind=compiled arch=gfx906 opt=O3
	.amdgcn_target "amdgcn-amd-amdhsa--gfx906"
	.amdhsa_code_object_version 6
	.section	.text._Z20BlockPrefixSumKernelILi1024ELi1ELN6hipcub16HIPCUB_304000_NS18BlockScanAlgorithmE1EEvPKiPi,"axG",@progbits,_Z20BlockPrefixSumKernelILi1024ELi1ELN6hipcub16HIPCUB_304000_NS18BlockScanAlgorithmE1EEvPKiPi,comdat
	.protected	_Z20BlockPrefixSumKernelILi1024ELi1ELN6hipcub16HIPCUB_304000_NS18BlockScanAlgorithmE1EEvPKiPi ; -- Begin function _Z20BlockPrefixSumKernelILi1024ELi1ELN6hipcub16HIPCUB_304000_NS18BlockScanAlgorithmE1EEvPKiPi
	.globl	_Z20BlockPrefixSumKernelILi1024ELi1ELN6hipcub16HIPCUB_304000_NS18BlockScanAlgorithmE1EEvPKiPi
	.p2align	8
	.type	_Z20BlockPrefixSumKernelILi1024ELi1ELN6hipcub16HIPCUB_304000_NS18BlockScanAlgorithmE1EEvPKiPi,@function
_Z20BlockPrefixSumKernelILi1024ELi1ELN6hipcub16HIPCUB_304000_NS18BlockScanAlgorithmE1EEvPKiPi: ; @_Z20BlockPrefixSumKernelILi1024ELi1ELN6hipcub16HIPCUB_304000_NS18BlockScanAlgorithmE1EEvPKiPi
; %bb.0:
	s_load_dwordx4 s[0:3], s[4:5], 0x0
	v_mbcnt_lo_u32_b32 v1, -1, 0
	v_mbcnt_hi_u32_b32 v5, -1, v1
	v_and_b32_e32 v1, 63, v5
	v_lshlrev_b32_e32 v1, 2, v1
	v_and_b32_e32 v2, 0x3c0, v0
	s_waitcnt lgkmcnt(0)
	v_mov_b32_e32 v3, s1
	v_add_co_u32_e32 v4, vcc, s0, v1
	v_addc_co_u32_e32 v6, vcc, 0, v3, vcc
	v_lshlrev_b32_e32 v2, 2, v2
	v_add_co_u32_e32 v3, vcc, v4, v2
	v_addc_co_u32_e32 v4, vcc, 0, v6, vcc
	global_load_dword v6, v[3:4], off
	v_lshrrev_b32_e32 v4, 3, v0
	v_and_b32_e32 v7, 0x7c, v4
	v_lshl_add_u32 v4, v5, 2, v2
	v_mov_b32_e32 v3, 0
	v_lshl_add_u32 v7, v0, 2, v7
	v_cmp_gt_u32_e32 vcc, 64, v0
	s_waitcnt vmcnt(0)
	ds_write_b32 v4, v6
	; wave barrier
	ds_read_b32 v6, v4
	s_waitcnt lgkmcnt(0)
	s_barrier
	ds_write_b32 v7, v6
	s_waitcnt lgkmcnt(0)
	s_barrier
	s_and_saveexec_b64 s[0:1], vcc
	s_cbranch_execz .LBB0_2
; %bb.1:
	v_lshlrev_b32_e32 v7, 1, v0
	v_and_b32_e32 v7, 0x7fc, v7
	v_lshl_add_u32 v19, v0, 6, v7
	ds_read2_b32 v[7:8], v19 offset1:1
	ds_read2_b32 v[9:10], v19 offset0:2 offset1:3
	ds_read2_b32 v[11:12], v19 offset0:4 offset1:5
	;; [unrolled: 1-line block ×3, first 2 shown]
	s_waitcnt lgkmcnt(3)
	v_add_u32_e32 v8, v8, v7
	s_waitcnt lgkmcnt(2)
	v_add3_u32 v8, v8, v9, v10
	s_waitcnt lgkmcnt(1)
	v_add3_u32 v12, v8, v11, v12
	ds_read2_b32 v[8:9], v19 offset0:8 offset1:9
	ds_read2_b32 v[10:11], v19 offset0:10 offset1:11
	;; [unrolled: 1-line block ×4, first 2 shown]
	s_waitcnt lgkmcnt(4)
	v_add3_u32 v12, v12, v13, v14
	s_waitcnt lgkmcnt(3)
	v_add3_u32 v8, v12, v8, v9
	;; [unrolled: 2-line block ×5, first 2 shown]
	v_and_b32_e32 v9, 15, v5
	v_cmp_ne_u32_e32 vcc, 0, v9
	v_mov_b32_dpp v10, v8 row_shr:1 row_mask:0xf bank_mask:0xf
	v_cndmask_b32_e32 v10, 0, v10, vcc
	v_add_u32_e32 v8, v10, v8
	v_cmp_lt_u32_e32 vcc, 1, v9
	s_nop 0
	v_mov_b32_dpp v10, v8 row_shr:2 row_mask:0xf bank_mask:0xf
	v_cndmask_b32_e32 v10, 0, v10, vcc
	v_add_u32_e32 v8, v8, v10
	v_cmp_lt_u32_e32 vcc, 3, v9
	; wave barrier
	s_nop 0
	v_mov_b32_dpp v10, v8 row_shr:4 row_mask:0xf bank_mask:0xf
	v_cndmask_b32_e32 v10, 0, v10, vcc
	v_add_u32_e32 v8, v8, v10
	v_cmp_lt_u32_e32 vcc, 7, v9
	s_nop 0
	v_mov_b32_dpp v10, v8 row_shr:8 row_mask:0xf bank_mask:0xf
	v_cndmask_b32_e32 v9, 0, v10, vcc
	v_add_u32_e32 v8, v8, v9
	v_bfe_i32 v10, v5, 4, 1
	v_cmp_lt_u32_e32 vcc, 31, v5
	v_mov_b32_dpp v9, v8 row_bcast:15 row_mask:0xf bank_mask:0xf
	v_and_b32_e32 v9, v10, v9
	v_add_u32_e32 v8, v8, v9
	v_and_b32_e32 v10, 64, v5
	s_nop 0
	v_mov_b32_dpp v9, v8 row_bcast:31 row_mask:0xf bank_mask:0xf
	v_cndmask_b32_e32 v9, 0, v9, vcc
	v_add_u32_e32 v8, v8, v9
	v_add_u32_e32 v9, -1, v5
	v_cmp_lt_i32_e32 vcc, v9, v10
	v_cndmask_b32_e32 v5, v9, v5, vcc
	v_lshlrev_b32_e32 v5, 2, v5
	ds_bpermute_b32 v5, v5, v8
	v_cmp_eq_u32_e32 vcc, 0, v0
	s_waitcnt lgkmcnt(0)
	v_add_u32_e32 v5, v5, v7
	v_cndmask_b32_e32 v13, v5, v6, vcc
	ds_write_b32 v19, v13
	; wave barrier
	ds_read2_b32 v[5:6], v19 offset0:1 offset1:2
	ds_read2_b32 v[7:8], v19 offset0:3 offset1:4
	;; [unrolled: 1-line block ×4, first 2 shown]
	s_waitcnt lgkmcnt(3)
	v_add_u32_e32 v5, v5, v13
	v_add_u32_e32 v6, v6, v5
	ds_write2_b32 v19, v5, v6 offset0:1 offset1:2
	s_waitcnt lgkmcnt(3)
	v_add_u32_e32 v5, v7, v6
	v_add_u32_e32 v6, v8, v5
	ds_write2_b32 v19, v5, v6 offset0:3 offset1:4
	;; [unrolled: 4-line block ×3, first 2 shown]
	s_waitcnt lgkmcnt(3)
	v_add_u32_e32 v7, v11, v6
	ds_read2_b32 v[5:6], v19 offset0:9 offset1:10
	v_add_u32_e32 v11, v12, v7
	ds_write2_b32 v19, v7, v11 offset0:7 offset1:8
	ds_read2_b32 v[7:8], v19 offset0:11 offset1:12
	ds_read2_b32 v[9:10], v19 offset0:13 offset1:14
	ds_read_b32 v12, v19 offset:60
	s_waitcnt lgkmcnt(4)
	v_add_u32_e32 v5, v5, v11
	v_add_u32_e32 v6, v6, v5
	ds_write2_b32 v19, v5, v6 offset0:9 offset1:10
	s_waitcnt lgkmcnt(3)
	v_add_u32_e32 v5, v7, v6
	v_add_u32_e32 v6, v8, v5
	ds_write2_b32 v19, v5, v6 offset0:11 offset1:12
	;; [unrolled: 4-line block ×3, first 2 shown]
	s_waitcnt lgkmcnt(3)
	v_add_u32_e32 v5, v12, v6
	ds_write_b32 v19, v5 offset:60
.LBB0_2:
	s_or_b64 exec, exec, s[0:1]
	v_cmp_eq_u32_e32 vcc, 0, v0
	v_cmp_ne_u32_e64 s[0:1], 0, v0
	s_waitcnt lgkmcnt(0)
	s_barrier
	s_and_saveexec_b64 s[4:5], s[0:1]
; %bb.3:
	v_add_u32_e32 v0, -1, v0
	v_lshrrev_b32_e32 v3, 3, v0
	v_and_b32_e32 v3, 0x1ffffffc, v3
	v_lshl_add_u32 v0, v0, 2, v3
	ds_read_b32 v3, v0
; %bb.4:
	s_or_b64 exec, exec, s[4:5]
	v_mov_b32_e32 v0, 0
	ds_read_b32 v0, v0 offset:4216
	s_waitcnt lgkmcnt(0)
	s_barrier
	ds_write_b32 v4, v3
	; wave barrier
	ds_read_b32 v3, v4
	v_mov_b32_e32 v4, s3
	v_add_co_u32_e64 v1, s[0:1], s2, v1
	v_addc_co_u32_e64 v4, s[0:1], 0, v4, s[0:1]
	v_add_co_u32_e64 v1, s[0:1], v1, v2
	v_addc_co_u32_e64 v2, s[0:1], 0, v4, s[0:1]
	s_waitcnt lgkmcnt(0)
	global_store_dword v[1:2], v3, off
	s_and_saveexec_b64 s[0:1], vcc
	s_cbranch_execz .LBB0_6
; %bb.5:
	v_mov_b32_e32 v1, 0x1000
	global_store_dword v1, v0, s[2:3]
.LBB0_6:
	s_endpgm
	.section	.rodata,"a",@progbits
	.p2align	6, 0x0
	.amdhsa_kernel _Z20BlockPrefixSumKernelILi1024ELi1ELN6hipcub16HIPCUB_304000_NS18BlockScanAlgorithmE1EEvPKiPi
		.amdhsa_group_segment_fixed_size 4224
		.amdhsa_private_segment_fixed_size 0
		.amdhsa_kernarg_size 16
		.amdhsa_user_sgpr_count 6
		.amdhsa_user_sgpr_private_segment_buffer 1
		.amdhsa_user_sgpr_dispatch_ptr 0
		.amdhsa_user_sgpr_queue_ptr 0
		.amdhsa_user_sgpr_kernarg_segment_ptr 1
		.amdhsa_user_sgpr_dispatch_id 0
		.amdhsa_user_sgpr_flat_scratch_init 0
		.amdhsa_user_sgpr_private_segment_size 0
		.amdhsa_uses_dynamic_stack 0
		.amdhsa_system_sgpr_private_segment_wavefront_offset 0
		.amdhsa_system_sgpr_workgroup_id_x 1
		.amdhsa_system_sgpr_workgroup_id_y 0
		.amdhsa_system_sgpr_workgroup_id_z 0
		.amdhsa_system_sgpr_workgroup_info 0
		.amdhsa_system_vgpr_workitem_id 0
		.amdhsa_next_free_vgpr 29
		.amdhsa_next_free_sgpr 61
		.amdhsa_reserve_vcc 1
		.amdhsa_reserve_flat_scratch 0
		.amdhsa_float_round_mode_32 0
		.amdhsa_float_round_mode_16_64 0
		.amdhsa_float_denorm_mode_32 3
		.amdhsa_float_denorm_mode_16_64 3
		.amdhsa_dx10_clamp 1
		.amdhsa_ieee_mode 1
		.amdhsa_fp16_overflow 0
		.amdhsa_exception_fp_ieee_invalid_op 0
		.amdhsa_exception_fp_denorm_src 0
		.amdhsa_exception_fp_ieee_div_zero 0
		.amdhsa_exception_fp_ieee_overflow 0
		.amdhsa_exception_fp_ieee_underflow 0
		.amdhsa_exception_fp_ieee_inexact 0
		.amdhsa_exception_int_div_zero 0
	.end_amdhsa_kernel
	.section	.text._Z20BlockPrefixSumKernelILi1024ELi1ELN6hipcub16HIPCUB_304000_NS18BlockScanAlgorithmE1EEvPKiPi,"axG",@progbits,_Z20BlockPrefixSumKernelILi1024ELi1ELN6hipcub16HIPCUB_304000_NS18BlockScanAlgorithmE1EEvPKiPi,comdat
.Lfunc_end0:
	.size	_Z20BlockPrefixSumKernelILi1024ELi1ELN6hipcub16HIPCUB_304000_NS18BlockScanAlgorithmE1EEvPKiPi, .Lfunc_end0-_Z20BlockPrefixSumKernelILi1024ELi1ELN6hipcub16HIPCUB_304000_NS18BlockScanAlgorithmE1EEvPKiPi
                                        ; -- End function
	.set _Z20BlockPrefixSumKernelILi1024ELi1ELN6hipcub16HIPCUB_304000_NS18BlockScanAlgorithmE1EEvPKiPi.num_vgpr, 20
	.set _Z20BlockPrefixSumKernelILi1024ELi1ELN6hipcub16HIPCUB_304000_NS18BlockScanAlgorithmE1EEvPKiPi.num_agpr, 0
	.set _Z20BlockPrefixSumKernelILi1024ELi1ELN6hipcub16HIPCUB_304000_NS18BlockScanAlgorithmE1EEvPKiPi.numbered_sgpr, 6
	.set _Z20BlockPrefixSumKernelILi1024ELi1ELN6hipcub16HIPCUB_304000_NS18BlockScanAlgorithmE1EEvPKiPi.num_named_barrier, 0
	.set _Z20BlockPrefixSumKernelILi1024ELi1ELN6hipcub16HIPCUB_304000_NS18BlockScanAlgorithmE1EEvPKiPi.private_seg_size, 0
	.set _Z20BlockPrefixSumKernelILi1024ELi1ELN6hipcub16HIPCUB_304000_NS18BlockScanAlgorithmE1EEvPKiPi.uses_vcc, 1
	.set _Z20BlockPrefixSumKernelILi1024ELi1ELN6hipcub16HIPCUB_304000_NS18BlockScanAlgorithmE1EEvPKiPi.uses_flat_scratch, 0
	.set _Z20BlockPrefixSumKernelILi1024ELi1ELN6hipcub16HIPCUB_304000_NS18BlockScanAlgorithmE1EEvPKiPi.has_dyn_sized_stack, 0
	.set _Z20BlockPrefixSumKernelILi1024ELi1ELN6hipcub16HIPCUB_304000_NS18BlockScanAlgorithmE1EEvPKiPi.has_recursion, 0
	.set _Z20BlockPrefixSumKernelILi1024ELi1ELN6hipcub16HIPCUB_304000_NS18BlockScanAlgorithmE1EEvPKiPi.has_indirect_call, 0
	.section	.AMDGPU.csdata,"",@progbits
; Kernel info:
; codeLenInByte = 932
; TotalNumSgprs: 10
; NumVgprs: 20
; ScratchSize: 0
; MemoryBound: 0
; FloatMode: 240
; IeeeMode: 1
; LDSByteSize: 4224 bytes/workgroup (compile time only)
; SGPRBlocks: 8
; VGPRBlocks: 7
; NumSGPRsForWavesPerEU: 65
; NumVGPRsForWavesPerEU: 29
; Occupancy: 8
; WaveLimiterHint : 0
; COMPUTE_PGM_RSRC2:SCRATCH_EN: 0
; COMPUTE_PGM_RSRC2:USER_SGPR: 6
; COMPUTE_PGM_RSRC2:TRAP_HANDLER: 0
; COMPUTE_PGM_RSRC2:TGID_X_EN: 1
; COMPUTE_PGM_RSRC2:TGID_Y_EN: 0
; COMPUTE_PGM_RSRC2:TGID_Z_EN: 0
; COMPUTE_PGM_RSRC2:TIDIG_COMP_CNT: 0
	.section	.text._Z20BlockPrefixSumKernelILi512ELi2ELN6hipcub16HIPCUB_304000_NS18BlockScanAlgorithmE1EEvPKiPi,"axG",@progbits,_Z20BlockPrefixSumKernelILi512ELi2ELN6hipcub16HIPCUB_304000_NS18BlockScanAlgorithmE1EEvPKiPi,comdat
	.protected	_Z20BlockPrefixSumKernelILi512ELi2ELN6hipcub16HIPCUB_304000_NS18BlockScanAlgorithmE1EEvPKiPi ; -- Begin function _Z20BlockPrefixSumKernelILi512ELi2ELN6hipcub16HIPCUB_304000_NS18BlockScanAlgorithmE1EEvPKiPi
	.globl	_Z20BlockPrefixSumKernelILi512ELi2ELN6hipcub16HIPCUB_304000_NS18BlockScanAlgorithmE1EEvPKiPi
	.p2align	8
	.type	_Z20BlockPrefixSumKernelILi512ELi2ELN6hipcub16HIPCUB_304000_NS18BlockScanAlgorithmE1EEvPKiPi,@function
_Z20BlockPrefixSumKernelILi512ELi2ELN6hipcub16HIPCUB_304000_NS18BlockScanAlgorithmE1EEvPKiPi: ; @_Z20BlockPrefixSumKernelILi512ELi2ELN6hipcub16HIPCUB_304000_NS18BlockScanAlgorithmE1EEvPKiPi
; %bb.0:
	s_load_dwordx4 s[0:3], s[4:5], 0x0
	v_mbcnt_lo_u32_b32 v1, -1, 0
	v_mbcnt_hi_u32_b32 v9, -1, v1
	v_and_b32_e32 v1, 63, v9
	v_lshlrev_b32_e32 v2, 1, v0
	v_lshlrev_b32_e32 v3, 2, v1
	v_and_b32_e32 v6, 0x780, v2
	s_waitcnt lgkmcnt(0)
	v_mov_b32_e32 v1, s1
	v_add_co_u32_e32 v2, vcc, s0, v3
	v_addc_co_u32_e32 v5, vcc, 0, v1, vcc
	v_lshlrev_b32_e32 v4, 2, v6
	v_add_co_u32_e32 v1, vcc, v2, v4
	v_addc_co_u32_e32 v2, vcc, 0, v5, vcc
	global_load_dword v10, v[1:2], off
	global_load_dword v11, v[1:2], off offset:256
	v_and_b32_e32 v1, 0x3c0, v0
	v_lshrrev_b32_e32 v2, 3, v0
	v_add_u32_e32 v1, v9, v1
	v_and_b32_e32 v12, 0x7c, v2
	v_or_b32_e32 v2, v9, v6
	v_lshlrev_b32_e32 v6, 1, v1
	v_bfe_u32 v1, v1, 4, 27
	v_lshrrev_b32_e32 v7, 3, v2
	v_lshlrev_b32_e32 v13, 2, v2
	v_add_u32_e32 v2, 64, v2
	v_add_lshl_u32 v8, v1, v6, 2
	v_and_b32_e32 v1, 0xfc, v7
	v_lshrrev_b32_e32 v2, 3, v2
	v_add_u32_e32 v6, v1, v13
	v_and_b32_e32 v1, 0x1fc, v2
	v_add_u32_e32 v7, v1, v13
	v_mov_b32_e32 v5, 0
	v_cmp_gt_u32_e32 vcc, 64, v0
	s_waitcnt vmcnt(1)
	ds_write_b32 v6, v10
	s_waitcnt vmcnt(0)
	ds_write_b32 v7, v11 offset:256
	; wave barrier
	ds_read2_b32 v[1:2], v8 offset1:1
	v_lshl_add_u32 v10, v0, 2, v12
	s_waitcnt lgkmcnt(0)
	s_barrier
	v_add_u32_e32 v2, v2, v1
	ds_write_b32 v10, v2
	s_waitcnt lgkmcnt(0)
	s_barrier
	s_and_saveexec_b64 s[0:1], vcc
	s_cbranch_execz .LBB1_2
; %bb.1:
	v_and_b32_e32 v10, 0x3fc, v0
	v_lshl_add_u32 v18, v0, 5, v10
	ds_read2_b32 v[10:11], v18 offset1:1
	ds_read2_b32 v[12:13], v18 offset0:2 offset1:3
	ds_read2_b32 v[14:15], v18 offset0:4 offset1:5
	ds_read2_b32 v[16:17], v18 offset0:6 offset1:7
	v_and_b32_e32 v19, 15, v9
	s_waitcnt lgkmcnt(3)
	v_add_u32_e32 v11, v11, v10
	s_waitcnt lgkmcnt(2)
	v_add3_u32 v11, v11, v12, v13
	s_waitcnt lgkmcnt(1)
	v_add3_u32 v11, v11, v14, v15
	s_waitcnt lgkmcnt(0)
	v_add3_u32 v11, v11, v16, v17
	v_cmp_ne_u32_e32 vcc, 0, v19
	v_bfe_i32 v13, v9, 4, 1
	v_mov_b32_dpp v12, v11 row_shr:1 row_mask:0xf bank_mask:0xf
	v_cndmask_b32_e32 v12, 0, v12, vcc
	v_add_u32_e32 v11, v12, v11
	v_cmp_lt_u32_e32 vcc, 1, v19
	s_nop 0
	v_mov_b32_dpp v12, v11 row_shr:2 row_mask:0xf bank_mask:0xf
	v_cndmask_b32_e32 v12, 0, v12, vcc
	v_add_u32_e32 v11, v11, v12
	v_cmp_lt_u32_e32 vcc, 3, v19
	; wave barrier
	s_nop 0
	v_mov_b32_dpp v12, v11 row_shr:4 row_mask:0xf bank_mask:0xf
	v_cndmask_b32_e32 v12, 0, v12, vcc
	v_add_u32_e32 v11, v11, v12
	v_cmp_lt_u32_e32 vcc, 7, v19
	s_nop 0
	v_mov_b32_dpp v12, v11 row_shr:8 row_mask:0xf bank_mask:0xf
	v_cndmask_b32_e32 v12, 0, v12, vcc
	v_add_u32_e32 v11, v11, v12
	v_cmp_lt_u32_e32 vcc, 31, v9
	s_nop 0
	v_mov_b32_dpp v12, v11 row_bcast:15 row_mask:0xf bank_mask:0xf
	v_and_b32_e32 v12, v13, v12
	v_add_u32_e32 v11, v11, v12
	v_and_b32_e32 v13, 64, v9
	s_nop 0
	v_mov_b32_dpp v12, v11 row_bcast:31 row_mask:0xf bank_mask:0xf
	v_cndmask_b32_e32 v12, 0, v12, vcc
	v_add_u32_e32 v11, v11, v12
	v_add_u32_e32 v12, -1, v9
	v_cmp_lt_i32_e32 vcc, v12, v13
	v_cndmask_b32_e32 v9, v12, v9, vcc
	v_lshlrev_b32_e32 v9, 2, v9
	ds_bpermute_b32 v9, v9, v11
	v_cmp_eq_u32_e32 vcc, 0, v0
	s_waitcnt lgkmcnt(0)
	v_add_u32_e32 v9, v9, v10
	v_cndmask_b32_e32 v2, v9, v2, vcc
	ds_write_b32 v18, v2
	; wave barrier
	ds_read2_b32 v[9:10], v18 offset0:1 offset1:2
	ds_read2_b32 v[11:12], v18 offset0:3 offset1:4
	;; [unrolled: 1-line block ×3, first 2 shown]
	ds_read_b32 v15, v18 offset:28
	s_waitcnt lgkmcnt(3)
	v_add_u32_e32 v2, v9, v2
	v_add_u32_e32 v9, v10, v2
	ds_write2_b32 v18, v2, v9 offset0:1 offset1:2
	s_waitcnt lgkmcnt(3)
	v_add_u32_e32 v2, v11, v9
	v_add_u32_e32 v9, v12, v2
	ds_write2_b32 v18, v2, v9 offset0:3 offset1:4
	;; [unrolled: 4-line block ×3, first 2 shown]
	s_waitcnt lgkmcnt(3)
	v_add_u32_e32 v2, v15, v9
	ds_write_b32 v18, v2 offset:28
.LBB1_2:
	s_or_b64 exec, exec, s[0:1]
	v_cmp_eq_u32_e32 vcc, 0, v0
	v_cmp_ne_u32_e64 s[0:1], 0, v0
	s_waitcnt lgkmcnt(0)
	s_barrier
	s_and_saveexec_b64 s[4:5], s[0:1]
; %bb.3:
	v_add_u32_e32 v0, -1, v0
	v_lshrrev_b32_e32 v2, 3, v0
	v_and_b32_e32 v2, 0x1ffffffc, v2
	v_lshl_add_u32 v0, v0, 2, v2
	ds_read_b32 v5, v0
; %bb.4:
	s_or_b64 exec, exec, s[4:5]
	s_waitcnt lgkmcnt(0)
	v_add_u32_e32 v1, v5, v1
	v_mov_b32_e32 v0, 0
	ds_read_b32 v0, v0 offset:2104
	s_waitcnt lgkmcnt(0)
	s_barrier
	ds_write2_b32 v8, v5, v1 offset1:1
	; wave barrier
	ds_read_b32 v5, v6
	ds_read_b32 v6, v7 offset:256
	v_mov_b32_e32 v1, s3
	v_add_co_u32_e64 v2, s[0:1], s2, v3
	v_addc_co_u32_e64 v3, s[0:1], 0, v1, s[0:1]
	v_add_co_u32_e64 v1, s[0:1], v2, v4
	v_addc_co_u32_e64 v2, s[0:1], 0, v3, s[0:1]
	s_waitcnt lgkmcnt(1)
	global_store_dword v[1:2], v5, off
	s_waitcnt lgkmcnt(0)
	global_store_dword v[1:2], v6, off offset:256
	s_and_saveexec_b64 s[0:1], vcc
	s_cbranch_execz .LBB1_6
; %bb.5:
	v_mov_b32_e32 v1, 0x1000
	global_store_dword v1, v0, s[2:3]
.LBB1_6:
	s_endpgm
	.section	.rodata,"a",@progbits
	.p2align	6, 0x0
	.amdhsa_kernel _Z20BlockPrefixSumKernelILi512ELi2ELN6hipcub16HIPCUB_304000_NS18BlockScanAlgorithmE1EEvPKiPi
		.amdhsa_group_segment_fixed_size 4224
		.amdhsa_private_segment_fixed_size 0
		.amdhsa_kernarg_size 16
		.amdhsa_user_sgpr_count 6
		.amdhsa_user_sgpr_private_segment_buffer 1
		.amdhsa_user_sgpr_dispatch_ptr 0
		.amdhsa_user_sgpr_queue_ptr 0
		.amdhsa_user_sgpr_kernarg_segment_ptr 1
		.amdhsa_user_sgpr_dispatch_id 0
		.amdhsa_user_sgpr_flat_scratch_init 0
		.amdhsa_user_sgpr_private_segment_size 0
		.amdhsa_uses_dynamic_stack 0
		.amdhsa_system_sgpr_private_segment_wavefront_offset 0
		.amdhsa_system_sgpr_workgroup_id_x 1
		.amdhsa_system_sgpr_workgroup_id_y 0
		.amdhsa_system_sgpr_workgroup_id_z 0
		.amdhsa_system_sgpr_workgroup_info 0
		.amdhsa_system_vgpr_workitem_id 0
		.amdhsa_next_free_vgpr 29
		.amdhsa_next_free_sgpr 61
		.amdhsa_reserve_vcc 1
		.amdhsa_reserve_flat_scratch 0
		.amdhsa_float_round_mode_32 0
		.amdhsa_float_round_mode_16_64 0
		.amdhsa_float_denorm_mode_32 3
		.amdhsa_float_denorm_mode_16_64 3
		.amdhsa_dx10_clamp 1
		.amdhsa_ieee_mode 1
		.amdhsa_fp16_overflow 0
		.amdhsa_exception_fp_ieee_invalid_op 0
		.amdhsa_exception_fp_denorm_src 0
		.amdhsa_exception_fp_ieee_div_zero 0
		.amdhsa_exception_fp_ieee_overflow 0
		.amdhsa_exception_fp_ieee_underflow 0
		.amdhsa_exception_fp_ieee_inexact 0
		.amdhsa_exception_int_div_zero 0
	.end_amdhsa_kernel
	.section	.text._Z20BlockPrefixSumKernelILi512ELi2ELN6hipcub16HIPCUB_304000_NS18BlockScanAlgorithmE1EEvPKiPi,"axG",@progbits,_Z20BlockPrefixSumKernelILi512ELi2ELN6hipcub16HIPCUB_304000_NS18BlockScanAlgorithmE1EEvPKiPi,comdat
.Lfunc_end1:
	.size	_Z20BlockPrefixSumKernelILi512ELi2ELN6hipcub16HIPCUB_304000_NS18BlockScanAlgorithmE1EEvPKiPi, .Lfunc_end1-_Z20BlockPrefixSumKernelILi512ELi2ELN6hipcub16HIPCUB_304000_NS18BlockScanAlgorithmE1EEvPKiPi
                                        ; -- End function
	.set _Z20BlockPrefixSumKernelILi512ELi2ELN6hipcub16HIPCUB_304000_NS18BlockScanAlgorithmE1EEvPKiPi.num_vgpr, 20
	.set _Z20BlockPrefixSumKernelILi512ELi2ELN6hipcub16HIPCUB_304000_NS18BlockScanAlgorithmE1EEvPKiPi.num_agpr, 0
	.set _Z20BlockPrefixSumKernelILi512ELi2ELN6hipcub16HIPCUB_304000_NS18BlockScanAlgorithmE1EEvPKiPi.numbered_sgpr, 6
	.set _Z20BlockPrefixSumKernelILi512ELi2ELN6hipcub16HIPCUB_304000_NS18BlockScanAlgorithmE1EEvPKiPi.num_named_barrier, 0
	.set _Z20BlockPrefixSumKernelILi512ELi2ELN6hipcub16HIPCUB_304000_NS18BlockScanAlgorithmE1EEvPKiPi.private_seg_size, 0
	.set _Z20BlockPrefixSumKernelILi512ELi2ELN6hipcub16HIPCUB_304000_NS18BlockScanAlgorithmE1EEvPKiPi.uses_vcc, 1
	.set _Z20BlockPrefixSumKernelILi512ELi2ELN6hipcub16HIPCUB_304000_NS18BlockScanAlgorithmE1EEvPKiPi.uses_flat_scratch, 0
	.set _Z20BlockPrefixSumKernelILi512ELi2ELN6hipcub16HIPCUB_304000_NS18BlockScanAlgorithmE1EEvPKiPi.has_dyn_sized_stack, 0
	.set _Z20BlockPrefixSumKernelILi512ELi2ELN6hipcub16HIPCUB_304000_NS18BlockScanAlgorithmE1EEvPKiPi.has_recursion, 0
	.set _Z20BlockPrefixSumKernelILi512ELi2ELN6hipcub16HIPCUB_304000_NS18BlockScanAlgorithmE1EEvPKiPi.has_indirect_call, 0
	.section	.AMDGPU.csdata,"",@progbits
; Kernel info:
; codeLenInByte = 864
; TotalNumSgprs: 10
; NumVgprs: 20
; ScratchSize: 0
; MemoryBound: 0
; FloatMode: 240
; IeeeMode: 1
; LDSByteSize: 4224 bytes/workgroup (compile time only)
; SGPRBlocks: 8
; VGPRBlocks: 7
; NumSGPRsForWavesPerEU: 65
; NumVGPRsForWavesPerEU: 29
; Occupancy: 8
; WaveLimiterHint : 1
; COMPUTE_PGM_RSRC2:SCRATCH_EN: 0
; COMPUTE_PGM_RSRC2:USER_SGPR: 6
; COMPUTE_PGM_RSRC2:TRAP_HANDLER: 0
; COMPUTE_PGM_RSRC2:TGID_X_EN: 1
; COMPUTE_PGM_RSRC2:TGID_Y_EN: 0
; COMPUTE_PGM_RSRC2:TGID_Z_EN: 0
; COMPUTE_PGM_RSRC2:TIDIG_COMP_CNT: 0
	.section	.text._Z20BlockPrefixSumKernelILi256ELi4ELN6hipcub16HIPCUB_304000_NS18BlockScanAlgorithmE1EEvPKiPi,"axG",@progbits,_Z20BlockPrefixSumKernelILi256ELi4ELN6hipcub16HIPCUB_304000_NS18BlockScanAlgorithmE1EEvPKiPi,comdat
	.protected	_Z20BlockPrefixSumKernelILi256ELi4ELN6hipcub16HIPCUB_304000_NS18BlockScanAlgorithmE1EEvPKiPi ; -- Begin function _Z20BlockPrefixSumKernelILi256ELi4ELN6hipcub16HIPCUB_304000_NS18BlockScanAlgorithmE1EEvPKiPi
	.globl	_Z20BlockPrefixSumKernelILi256ELi4ELN6hipcub16HIPCUB_304000_NS18BlockScanAlgorithmE1EEvPKiPi
	.p2align	8
	.type	_Z20BlockPrefixSumKernelILi256ELi4ELN6hipcub16HIPCUB_304000_NS18BlockScanAlgorithmE1EEvPKiPi,@function
_Z20BlockPrefixSumKernelILi256ELi4ELN6hipcub16HIPCUB_304000_NS18BlockScanAlgorithmE1EEvPKiPi: ; @_Z20BlockPrefixSumKernelILi256ELi4ELN6hipcub16HIPCUB_304000_NS18BlockScanAlgorithmE1EEvPKiPi
; %bb.0:
	s_load_dwordx4 s[0:3], s[4:5], 0x0
	v_mbcnt_lo_u32_b32 v1, -1, 0
	v_mbcnt_hi_u32_b32 v8, -1, v1
	v_and_b32_e32 v1, 63, v8
	v_lshlrev_b32_e32 v14, 2, v0
	v_lshlrev_b32_e32 v5, 2, v1
	v_and_b32_e32 v3, 0xf00, v14
	s_waitcnt lgkmcnt(0)
	v_mov_b32_e32 v1, s1
	v_add_co_u32_e32 v2, vcc, s0, v5
	v_addc_co_u32_e32 v4, vcc, 0, v1, vcc
	v_lshlrev_b32_e32 v6, 2, v3
	v_add_co_u32_e32 v1, vcc, v2, v6
	v_addc_co_u32_e32 v2, vcc, 0, v4, vcc
	global_load_dword v4, v[1:2], off
	global_load_dword v15, v[1:2], off offset:256
	global_load_dword v16, v[1:2], off offset:512
	;; [unrolled: 1-line block ×3, first 2 shown]
	v_and_b32_e32 v1, 0x3c0, v0
	v_lshrrev_b32_e32 v2, 3, v0
	v_add_u32_e32 v1, v8, v1
	v_and_b32_e32 v2, 0x7c, v2
	v_or_b32_e32 v3, v8, v3
	v_lshlrev_b32_e32 v9, 2, v1
	v_bfe_u32 v1, v1, 3, 27
	v_add_u32_e32 v18, v2, v14
	v_lshrrev_b32_e32 v2, 3, v3
	v_lshlrev_b32_e32 v13, 2, v3
	v_add_u32_e32 v10, 64, v3
	v_or_b32_e32 v11, 0x80, v3
	v_add_u32_e32 v3, 0xc0, v3
	v_add_lshl_u32 v9, v1, v9, 2
	v_and_b32_e32 v1, 0x1ec, v2
	v_lshrrev_b32_e32 v2, 3, v10
	v_lshrrev_b32_e32 v11, 3, v11
	;; [unrolled: 1-line block ×3, first 2 shown]
	v_add_u32_e32 v10, v1, v13
	v_and_b32_e32 v1, 0x1fc, v2
	v_and_b32_e32 v2, 0x1fc, v11
	v_and_b32_e32 v3, 0x3fc, v3
	v_add_u32_e32 v11, v1, v13
	v_add_u32_e32 v12, v2, v13
	;; [unrolled: 1-line block ×3, first 2 shown]
	v_mov_b32_e32 v7, 0
	v_cmp_gt_u32_e32 vcc, 64, v0
	s_waitcnt vmcnt(3)
	ds_write_b32 v10, v4
	s_waitcnt vmcnt(2)
	ds_write_b32 v11, v15 offset:256
	s_waitcnt vmcnt(1)
	ds_write_b32 v12, v16 offset:512
	;; [unrolled: 2-line block ×3, first 2 shown]
	; wave barrier
	ds_read2_b32 v[1:2], v9 offset1:1
	ds_read2_b32 v[3:4], v9 offset0:2 offset1:3
	s_waitcnt lgkmcnt(0)
	s_barrier
	v_add_u32_e32 v15, v2, v1
	v_add3_u32 v4, v15, v3, v4
	ds_write_b32 v18, v4
	s_waitcnt lgkmcnt(0)
	s_barrier
	s_and_saveexec_b64 s[0:1], vcc
	s_cbranch_execz .LBB2_2
; %bb.1:
	v_lshrrev_b32_e32 v15, 1, v0
	v_and_b32_e32 v15, 0x1fc, v15
	v_lshl_add_u32 v18, v14, 2, v15
	ds_read2_b32 v[14:15], v18 offset1:1
	ds_read2_b32 v[16:17], v18 offset0:2 offset1:3
	v_and_b32_e32 v19, 15, v8
	v_cmp_ne_u32_e32 vcc, 0, v19
	s_waitcnt lgkmcnt(1)
	v_add_u32_e32 v15, v15, v14
	s_waitcnt lgkmcnt(0)
	v_add3_u32 v15, v15, v16, v17
	v_bfe_i32 v17, v8, 4, 1
	; wave barrier
	s_nop 0
	v_mov_b32_dpp v16, v15 row_shr:1 row_mask:0xf bank_mask:0xf
	v_cndmask_b32_e32 v16, 0, v16, vcc
	v_add_u32_e32 v15, v16, v15
	v_cmp_lt_u32_e32 vcc, 1, v19
	s_nop 0
	v_mov_b32_dpp v16, v15 row_shr:2 row_mask:0xf bank_mask:0xf
	v_cndmask_b32_e32 v16, 0, v16, vcc
	v_add_u32_e32 v15, v15, v16
	v_cmp_lt_u32_e32 vcc, 3, v19
	;; [unrolled: 5-line block ×4, first 2 shown]
	s_nop 0
	v_mov_b32_dpp v16, v15 row_bcast:15 row_mask:0xf bank_mask:0xf
	v_and_b32_e32 v16, v17, v16
	v_add_u32_e32 v15, v15, v16
	v_and_b32_e32 v17, 64, v8
	s_nop 0
	v_mov_b32_dpp v16, v15 row_bcast:31 row_mask:0xf bank_mask:0xf
	v_cndmask_b32_e32 v16, 0, v16, vcc
	v_add_u32_e32 v15, v15, v16
	v_add_u32_e32 v16, -1, v8
	v_cmp_lt_i32_e32 vcc, v16, v17
	v_cndmask_b32_e32 v8, v16, v8, vcc
	v_lshlrev_b32_e32 v8, 2, v8
	ds_bpermute_b32 v8, v8, v15
	v_cmp_eq_u32_e32 vcc, 0, v0
	s_waitcnt lgkmcnt(0)
	v_add_u32_e32 v8, v8, v14
	v_cndmask_b32_e32 v4, v8, v4, vcc
	ds_write_b32 v18, v4
	; wave barrier
	ds_read2_b32 v[14:15], v18 offset0:1 offset1:2
	ds_read_b32 v8, v18 offset:12
	s_waitcnt lgkmcnt(1)
	v_add_u32_e32 v4, v14, v4
	v_add_u32_e32 v14, v15, v4
	ds_write2_b32 v18, v4, v14 offset0:1 offset1:2
	s_waitcnt lgkmcnt(1)
	v_add_u32_e32 v4, v8, v14
	ds_write_b32 v18, v4 offset:12
.LBB2_2:
	s_or_b64 exec, exec, s[0:1]
	v_cmp_eq_u32_e32 vcc, 0, v0
	v_cmp_ne_u32_e64 s[0:1], 0, v0
	s_waitcnt lgkmcnt(0)
	s_barrier
	s_and_saveexec_b64 s[4:5], s[0:1]
; %bb.3:
	v_add_u32_e32 v0, -1, v0
	v_lshrrev_b32_e32 v4, 3, v0
	v_and_b32_e32 v4, 0x1ffffffc, v4
	v_lshl_add_u32 v0, v0, 2, v4
	ds_read_b32 v7, v0
; %bb.4:
	s_or_b64 exec, exec, s[4:5]
	s_waitcnt lgkmcnt(0)
	v_add_u32_e32 v1, v7, v1
	v_add_u32_e32 v2, v1, v2
	;; [unrolled: 1-line block ×3, first 2 shown]
	v_mov_b32_e32 v0, 0
	ds_read_b32 v0, v0 offset:1048
	s_waitcnt lgkmcnt(0)
	s_barrier
	ds_write2_b32 v9, v7, v1 offset1:1
	ds_write2_b32 v9, v2, v3 offset0:2 offset1:3
	; wave barrier
	ds_read_b32 v3, v10
	ds_read_b32 v4, v11 offset:256
	ds_read_b32 v7, v12 offset:512
	;; [unrolled: 1-line block ×3, first 2 shown]
	v_mov_b32_e32 v1, s3
	v_add_co_u32_e64 v2, s[0:1], s2, v5
	v_addc_co_u32_e64 v5, s[0:1], 0, v1, s[0:1]
	v_add_co_u32_e64 v1, s[0:1], v2, v6
	v_addc_co_u32_e64 v2, s[0:1], 0, v5, s[0:1]
	s_waitcnt lgkmcnt(3)
	global_store_dword v[1:2], v3, off
	s_waitcnt lgkmcnt(2)
	global_store_dword v[1:2], v4, off offset:256
	s_waitcnt lgkmcnt(1)
	global_store_dword v[1:2], v7, off offset:512
	;; [unrolled: 2-line block ×3, first 2 shown]
	s_and_saveexec_b64 s[0:1], vcc
	s_cbranch_execz .LBB2_6
; %bb.5:
	v_mov_b32_e32 v1, 0x1000
	global_store_dword v1, v0, s[2:3]
.LBB2_6:
	s_endpgm
	.section	.rodata,"a",@progbits
	.p2align	6, 0x0
	.amdhsa_kernel _Z20BlockPrefixSumKernelILi256ELi4ELN6hipcub16HIPCUB_304000_NS18BlockScanAlgorithmE1EEvPKiPi
		.amdhsa_group_segment_fixed_size 4224
		.amdhsa_private_segment_fixed_size 0
		.amdhsa_kernarg_size 16
		.amdhsa_user_sgpr_count 6
		.amdhsa_user_sgpr_private_segment_buffer 1
		.amdhsa_user_sgpr_dispatch_ptr 0
		.amdhsa_user_sgpr_queue_ptr 0
		.amdhsa_user_sgpr_kernarg_segment_ptr 1
		.amdhsa_user_sgpr_dispatch_id 0
		.amdhsa_user_sgpr_flat_scratch_init 0
		.amdhsa_user_sgpr_private_segment_size 0
		.amdhsa_uses_dynamic_stack 0
		.amdhsa_system_sgpr_private_segment_wavefront_offset 0
		.amdhsa_system_sgpr_workgroup_id_x 1
		.amdhsa_system_sgpr_workgroup_id_y 0
		.amdhsa_system_sgpr_workgroup_id_z 0
		.amdhsa_system_sgpr_workgroup_info 0
		.amdhsa_system_vgpr_workitem_id 0
		.amdhsa_next_free_vgpr 29
		.amdhsa_next_free_sgpr 61
		.amdhsa_reserve_vcc 1
		.amdhsa_reserve_flat_scratch 0
		.amdhsa_float_round_mode_32 0
		.amdhsa_float_round_mode_16_64 0
		.amdhsa_float_denorm_mode_32 3
		.amdhsa_float_denorm_mode_16_64 3
		.amdhsa_dx10_clamp 1
		.amdhsa_ieee_mode 1
		.amdhsa_fp16_overflow 0
		.amdhsa_exception_fp_ieee_invalid_op 0
		.amdhsa_exception_fp_denorm_src 0
		.amdhsa_exception_fp_ieee_div_zero 0
		.amdhsa_exception_fp_ieee_overflow 0
		.amdhsa_exception_fp_ieee_underflow 0
		.amdhsa_exception_fp_ieee_inexact 0
		.amdhsa_exception_int_div_zero 0
	.end_amdhsa_kernel
	.section	.text._Z20BlockPrefixSumKernelILi256ELi4ELN6hipcub16HIPCUB_304000_NS18BlockScanAlgorithmE1EEvPKiPi,"axG",@progbits,_Z20BlockPrefixSumKernelILi256ELi4ELN6hipcub16HIPCUB_304000_NS18BlockScanAlgorithmE1EEvPKiPi,comdat
.Lfunc_end2:
	.size	_Z20BlockPrefixSumKernelILi256ELi4ELN6hipcub16HIPCUB_304000_NS18BlockScanAlgorithmE1EEvPKiPi, .Lfunc_end2-_Z20BlockPrefixSumKernelILi256ELi4ELN6hipcub16HIPCUB_304000_NS18BlockScanAlgorithmE1EEvPKiPi
                                        ; -- End function
	.set _Z20BlockPrefixSumKernelILi256ELi4ELN6hipcub16HIPCUB_304000_NS18BlockScanAlgorithmE1EEvPKiPi.num_vgpr, 20
	.set _Z20BlockPrefixSumKernelILi256ELi4ELN6hipcub16HIPCUB_304000_NS18BlockScanAlgorithmE1EEvPKiPi.num_agpr, 0
	.set _Z20BlockPrefixSumKernelILi256ELi4ELN6hipcub16HIPCUB_304000_NS18BlockScanAlgorithmE1EEvPKiPi.numbered_sgpr, 6
	.set _Z20BlockPrefixSumKernelILi256ELi4ELN6hipcub16HIPCUB_304000_NS18BlockScanAlgorithmE1EEvPKiPi.num_named_barrier, 0
	.set _Z20BlockPrefixSumKernelILi256ELi4ELN6hipcub16HIPCUB_304000_NS18BlockScanAlgorithmE1EEvPKiPi.private_seg_size, 0
	.set _Z20BlockPrefixSumKernelILi256ELi4ELN6hipcub16HIPCUB_304000_NS18BlockScanAlgorithmE1EEvPKiPi.uses_vcc, 1
	.set _Z20BlockPrefixSumKernelILi256ELi4ELN6hipcub16HIPCUB_304000_NS18BlockScanAlgorithmE1EEvPKiPi.uses_flat_scratch, 0
	.set _Z20BlockPrefixSumKernelILi256ELi4ELN6hipcub16HIPCUB_304000_NS18BlockScanAlgorithmE1EEvPKiPi.has_dyn_sized_stack, 0
	.set _Z20BlockPrefixSumKernelILi256ELi4ELN6hipcub16HIPCUB_304000_NS18BlockScanAlgorithmE1EEvPKiPi.has_recursion, 0
	.set _Z20BlockPrefixSumKernelILi256ELi4ELN6hipcub16HIPCUB_304000_NS18BlockScanAlgorithmE1EEvPKiPi.has_indirect_call, 0
	.section	.AMDGPU.csdata,"",@progbits
; Kernel info:
; codeLenInByte = 932
; TotalNumSgprs: 10
; NumVgprs: 20
; ScratchSize: 0
; MemoryBound: 0
; FloatMode: 240
; IeeeMode: 1
; LDSByteSize: 4224 bytes/workgroup (compile time only)
; SGPRBlocks: 8
; VGPRBlocks: 7
; NumSGPRsForWavesPerEU: 65
; NumVGPRsForWavesPerEU: 29
; Occupancy: 8
; WaveLimiterHint : 1
; COMPUTE_PGM_RSRC2:SCRATCH_EN: 0
; COMPUTE_PGM_RSRC2:USER_SGPR: 6
; COMPUTE_PGM_RSRC2:TRAP_HANDLER: 0
; COMPUTE_PGM_RSRC2:TGID_X_EN: 1
; COMPUTE_PGM_RSRC2:TGID_Y_EN: 0
; COMPUTE_PGM_RSRC2:TGID_Z_EN: 0
; COMPUTE_PGM_RSRC2:TIDIG_COMP_CNT: 0
	.section	.text._Z20BlockPrefixSumKernelILi128ELi8ELN6hipcub16HIPCUB_304000_NS18BlockScanAlgorithmE1EEvPKiPi,"axG",@progbits,_Z20BlockPrefixSumKernelILi128ELi8ELN6hipcub16HIPCUB_304000_NS18BlockScanAlgorithmE1EEvPKiPi,comdat
	.protected	_Z20BlockPrefixSumKernelILi128ELi8ELN6hipcub16HIPCUB_304000_NS18BlockScanAlgorithmE1EEvPKiPi ; -- Begin function _Z20BlockPrefixSumKernelILi128ELi8ELN6hipcub16HIPCUB_304000_NS18BlockScanAlgorithmE1EEvPKiPi
	.globl	_Z20BlockPrefixSumKernelILi128ELi8ELN6hipcub16HIPCUB_304000_NS18BlockScanAlgorithmE1EEvPKiPi
	.p2align	8
	.type	_Z20BlockPrefixSumKernelILi128ELi8ELN6hipcub16HIPCUB_304000_NS18BlockScanAlgorithmE1EEvPKiPi,@function
_Z20BlockPrefixSumKernelILi128ELi8ELN6hipcub16HIPCUB_304000_NS18BlockScanAlgorithmE1EEvPKiPi: ; @_Z20BlockPrefixSumKernelILi128ELi8ELN6hipcub16HIPCUB_304000_NS18BlockScanAlgorithmE1EEvPKiPi
; %bb.0:
	s_load_dwordx4 s[0:3], s[4:5], 0x0
	v_mbcnt_lo_u32_b32 v1, -1, 0
	v_mbcnt_hi_u32_b32 v12, -1, v1
	v_and_b32_e32 v1, 63, v12
	v_lshlrev_b32_e32 v13, 3, v0
	v_lshlrev_b32_e32 v9, 2, v1
	v_and_b32_e32 v3, 0x1e00, v13
	s_waitcnt lgkmcnt(0)
	v_mov_b32_e32 v1, s1
	v_add_co_u32_e32 v2, vcc, s0, v9
	v_addc_co_u32_e32 v4, vcc, 0, v1, vcc
	v_lshlrev_b32_e32 v10, 2, v3
	v_add_co_u32_e32 v1, vcc, v2, v10
	v_addc_co_u32_e32 v2, vcc, 0, v4, vcc
	global_load_dword v4, v[1:2], off
	global_load_dword v5, v[1:2], off offset:256
	global_load_dword v6, v[1:2], off offset:512
	;; [unrolled: 1-line block ×7, first 2 shown]
	v_and_b32_e32 v1, 0x3c0, v0
	v_lshrrev_b32_e32 v2, 3, v0
	v_add_u32_e32 v1, v12, v1
	v_and_b32_e32 v2, 0x7c, v2
	v_or_b32_e32 v3, v12, v3
	v_lshlrev_b32_e32 v14, 3, v1
	v_bfe_u32 v1, v1, 2, 27
	v_lshl_add_u32 v26, v0, 2, v2
	v_lshrrev_b32_e32 v2, 3, v3
	v_lshlrev_b32_e32 v22, 2, v3
	v_add_u32_e32 v15, 64, v3
	v_or_b32_e32 v16, 0x80, v3
	v_add_u32_e32 v17, 0xc0, v3
	v_or_b32_e32 v18, 0x100, v3
	;; [unrolled: 2-line block ×3, first 2 shown]
	v_add_u32_e32 v3, 0x1c0, v3
	v_add_lshl_u32 v14, v1, v14, 2
	v_and_b32_e32 v1, 0x3cc, v2
	v_lshrrev_b32_e32 v2, 3, v15
	v_lshrrev_b32_e32 v16, 3, v16
	;; [unrolled: 1-line block ×7, first 2 shown]
	v_add_u32_e32 v15, v1, v22
	v_and_b32_e32 v1, 0x3dc, v2
	v_and_b32_e32 v2, 0x3dc, v16
	;; [unrolled: 1-line block ×7, first 2 shown]
	v_add_u32_e32 v16, v1, v22
	v_add_u32_e32 v17, v2, v22
	;; [unrolled: 1-line block ×7, first 2 shown]
	v_mov_b32_e32 v11, 0
	v_cmp_gt_u32_e32 vcc, 64, v0
	s_waitcnt vmcnt(7)
	ds_write_b32 v15, v4
	s_waitcnt vmcnt(6)
	ds_write_b32 v16, v5 offset:256
	s_waitcnt vmcnt(5)
	ds_write_b32 v17, v6 offset:512
	;; [unrolled: 2-line block ×7, first 2 shown]
	; wave barrier
	ds_read2_b32 v[7:8], v14 offset1:1
	ds_read2_b32 v[5:6], v14 offset0:2 offset1:3
	ds_read2_b32 v[1:2], v14 offset0:4 offset1:5
	;; [unrolled: 1-line block ×3, first 2 shown]
	s_waitcnt lgkmcnt(0)
	v_add_u32_e32 v23, v8, v7
	v_add3_u32 v23, v23, v5, v6
	v_add3_u32 v23, v23, v1, v2
	;; [unrolled: 1-line block ×3, first 2 shown]
	s_barrier
	ds_write_b32 v26, v4
	s_waitcnt lgkmcnt(0)
	s_barrier
	s_and_saveexec_b64 s[0:1], vcc
	s_cbranch_execz .LBB3_2
; %bb.1:
	v_lshrrev_b32_e32 v23, 2, v0
	v_and_b32_e32 v23, 0xfc, v23
	v_add_u32_e32 v13, v23, v13
	ds_read2_b32 v[23:24], v13 offset1:1
	v_and_b32_e32 v25, 15, v12
	v_cmp_ne_u32_e32 vcc, 0, v25
	; wave barrier
	s_waitcnt lgkmcnt(0)
	v_add_u32_e32 v24, v24, v23
	s_nop 1
	v_mov_b32_dpp v26, v24 row_shr:1 row_mask:0xf bank_mask:0xf
	v_cndmask_b32_e32 v26, 0, v26, vcc
	v_add_u32_e32 v24, v26, v24
	v_cmp_lt_u32_e32 vcc, 1, v25
	s_nop 0
	v_mov_b32_dpp v26, v24 row_shr:2 row_mask:0xf bank_mask:0xf
	v_cndmask_b32_e32 v26, 0, v26, vcc
	v_add_u32_e32 v24, v24, v26
	v_cmp_lt_u32_e32 vcc, 3, v25
	;; [unrolled: 5-line block ×3, first 2 shown]
	s_nop 0
	v_mov_b32_dpp v26, v24 row_shr:8 row_mask:0xf bank_mask:0xf
	v_cndmask_b32_e32 v25, 0, v26, vcc
	v_add_u32_e32 v24, v24, v25
	v_bfe_i32 v26, v12, 4, 1
	v_cmp_lt_u32_e32 vcc, 31, v12
	v_mov_b32_dpp v25, v24 row_bcast:15 row_mask:0xf bank_mask:0xf
	v_and_b32_e32 v25, v26, v25
	v_add_u32_e32 v24, v24, v25
	v_and_b32_e32 v26, 64, v12
	s_nop 0
	v_mov_b32_dpp v25, v24 row_bcast:31 row_mask:0xf bank_mask:0xf
	v_cndmask_b32_e32 v25, 0, v25, vcc
	v_add_u32_e32 v24, v24, v25
	v_add_u32_e32 v25, -1, v12
	v_cmp_lt_i32_e32 vcc, v25, v26
	v_cndmask_b32_e32 v12, v25, v12, vcc
	v_lshlrev_b32_e32 v12, 2, v12
	ds_bpermute_b32 v12, v12, v24
	v_cmp_eq_u32_e32 vcc, 0, v0
	s_waitcnt lgkmcnt(0)
	v_add_u32_e32 v12, v12, v23
	v_cndmask_b32_e32 v4, v12, v4, vcc
	ds_write_b32 v13, v4
	; wave barrier
	ds_read_b32 v12, v13 offset:4
	s_waitcnt lgkmcnt(0)
	v_add_u32_e32 v4, v12, v4
	ds_write_b32 v13, v4 offset:4
.LBB3_2:
	s_or_b64 exec, exec, s[0:1]
	v_cmp_eq_u32_e32 vcc, 0, v0
	v_cmp_ne_u32_e64 s[0:1], 0, v0
	s_waitcnt lgkmcnt(0)
	s_barrier
	s_and_saveexec_b64 s[4:5], s[0:1]
; %bb.3:
	v_add_u32_e32 v0, -1, v0
	v_lshrrev_b32_e32 v4, 3, v0
	v_and_b32_e32 v4, 0x1ffffffc, v4
	v_lshl_add_u32 v0, v0, 2, v4
	ds_read_b32 v11, v0
; %bb.4:
	s_or_b64 exec, exec, s[4:5]
	s_waitcnt lgkmcnt(0)
	v_add_u32_e32 v4, v11, v7
	v_add_u32_e32 v7, v4, v8
	;; [unrolled: 1-line block ×7, first 2 shown]
	v_mov_b32_e32 v0, 0
	ds_read_b32 v0, v0 offset:520
	s_waitcnt lgkmcnt(0)
	s_barrier
	ds_write2_b32 v14, v11, v4 offset1:1
	ds_write2_b32 v14, v7, v5 offset0:2 offset1:3
	ds_write2_b32 v14, v6, v1 offset0:4 offset1:5
	;; [unrolled: 1-line block ×3, first 2 shown]
	; wave barrier
	ds_read_b32 v3, v15
	ds_read_b32 v4, v16 offset:256
	ds_read_b32 v5, v17 offset:512
	;; [unrolled: 1-line block ×7, first 2 shown]
	v_mov_b32_e32 v1, s3
	v_add_co_u32_e64 v2, s[0:1], s2, v9
	v_addc_co_u32_e64 v9, s[0:1], 0, v1, s[0:1]
	v_add_co_u32_e64 v1, s[0:1], v2, v10
	v_addc_co_u32_e64 v2, s[0:1], 0, v9, s[0:1]
	s_waitcnt lgkmcnt(7)
	global_store_dword v[1:2], v3, off
	s_waitcnt lgkmcnt(6)
	global_store_dword v[1:2], v4, off offset:256
	s_waitcnt lgkmcnt(5)
	global_store_dword v[1:2], v5, off offset:512
	;; [unrolled: 2-line block ×7, first 2 shown]
	s_and_saveexec_b64 s[0:1], vcc
	s_cbranch_execz .LBB3_6
; %bb.5:
	v_mov_b32_e32 v1, 0x1000
	global_store_dword v1, v0, s[2:3]
.LBB3_6:
	s_endpgm
	.section	.rodata,"a",@progbits
	.p2align	6, 0x0
	.amdhsa_kernel _Z20BlockPrefixSumKernelILi128ELi8ELN6hipcub16HIPCUB_304000_NS18BlockScanAlgorithmE1EEvPKiPi
		.amdhsa_group_segment_fixed_size 4224
		.amdhsa_private_segment_fixed_size 0
		.amdhsa_kernarg_size 16
		.amdhsa_user_sgpr_count 6
		.amdhsa_user_sgpr_private_segment_buffer 1
		.amdhsa_user_sgpr_dispatch_ptr 0
		.amdhsa_user_sgpr_queue_ptr 0
		.amdhsa_user_sgpr_kernarg_segment_ptr 1
		.amdhsa_user_sgpr_dispatch_id 0
		.amdhsa_user_sgpr_flat_scratch_init 0
		.amdhsa_user_sgpr_private_segment_size 0
		.amdhsa_uses_dynamic_stack 0
		.amdhsa_system_sgpr_private_segment_wavefront_offset 0
		.amdhsa_system_sgpr_workgroup_id_x 1
		.amdhsa_system_sgpr_workgroup_id_y 0
		.amdhsa_system_sgpr_workgroup_id_z 0
		.amdhsa_system_sgpr_workgroup_info 0
		.amdhsa_system_vgpr_workitem_id 0
		.amdhsa_next_free_vgpr 30
		.amdhsa_next_free_sgpr 61
		.amdhsa_reserve_vcc 1
		.amdhsa_reserve_flat_scratch 0
		.amdhsa_float_round_mode_32 0
		.amdhsa_float_round_mode_16_64 0
		.amdhsa_float_denorm_mode_32 3
		.amdhsa_float_denorm_mode_16_64 3
		.amdhsa_dx10_clamp 1
		.amdhsa_ieee_mode 1
		.amdhsa_fp16_overflow 0
		.amdhsa_exception_fp_ieee_invalid_op 0
		.amdhsa_exception_fp_denorm_src 0
		.amdhsa_exception_fp_ieee_div_zero 0
		.amdhsa_exception_fp_ieee_overflow 0
		.amdhsa_exception_fp_ieee_underflow 0
		.amdhsa_exception_fp_ieee_inexact 0
		.amdhsa_exception_int_div_zero 0
	.end_amdhsa_kernel
	.section	.text._Z20BlockPrefixSumKernelILi128ELi8ELN6hipcub16HIPCUB_304000_NS18BlockScanAlgorithmE1EEvPKiPi,"axG",@progbits,_Z20BlockPrefixSumKernelILi128ELi8ELN6hipcub16HIPCUB_304000_NS18BlockScanAlgorithmE1EEvPKiPi,comdat
.Lfunc_end3:
	.size	_Z20BlockPrefixSumKernelILi128ELi8ELN6hipcub16HIPCUB_304000_NS18BlockScanAlgorithmE1EEvPKiPi, .Lfunc_end3-_Z20BlockPrefixSumKernelILi128ELi8ELN6hipcub16HIPCUB_304000_NS18BlockScanAlgorithmE1EEvPKiPi
                                        ; -- End function
	.set _Z20BlockPrefixSumKernelILi128ELi8ELN6hipcub16HIPCUB_304000_NS18BlockScanAlgorithmE1EEvPKiPi.num_vgpr, 30
	.set _Z20BlockPrefixSumKernelILi128ELi8ELN6hipcub16HIPCUB_304000_NS18BlockScanAlgorithmE1EEvPKiPi.num_agpr, 0
	.set _Z20BlockPrefixSumKernelILi128ELi8ELN6hipcub16HIPCUB_304000_NS18BlockScanAlgorithmE1EEvPKiPi.numbered_sgpr, 6
	.set _Z20BlockPrefixSumKernelILi128ELi8ELN6hipcub16HIPCUB_304000_NS18BlockScanAlgorithmE1EEvPKiPi.num_named_barrier, 0
	.set _Z20BlockPrefixSumKernelILi128ELi8ELN6hipcub16HIPCUB_304000_NS18BlockScanAlgorithmE1EEvPKiPi.private_seg_size, 0
	.set _Z20BlockPrefixSumKernelILi128ELi8ELN6hipcub16HIPCUB_304000_NS18BlockScanAlgorithmE1EEvPKiPi.uses_vcc, 1
	.set _Z20BlockPrefixSumKernelILi128ELi8ELN6hipcub16HIPCUB_304000_NS18BlockScanAlgorithmE1EEvPKiPi.uses_flat_scratch, 0
	.set _Z20BlockPrefixSumKernelILi128ELi8ELN6hipcub16HIPCUB_304000_NS18BlockScanAlgorithmE1EEvPKiPi.has_dyn_sized_stack, 0
	.set _Z20BlockPrefixSumKernelILi128ELi8ELN6hipcub16HIPCUB_304000_NS18BlockScanAlgorithmE1EEvPKiPi.has_recursion, 0
	.set _Z20BlockPrefixSumKernelILi128ELi8ELN6hipcub16HIPCUB_304000_NS18BlockScanAlgorithmE1EEvPKiPi.has_indirect_call, 0
	.section	.AMDGPU.csdata,"",@progbits
; Kernel info:
; codeLenInByte = 1200
; TotalNumSgprs: 10
; NumVgprs: 30
; ScratchSize: 0
; MemoryBound: 0
; FloatMode: 240
; IeeeMode: 1
; LDSByteSize: 4224 bytes/workgroup (compile time only)
; SGPRBlocks: 8
; VGPRBlocks: 7
; NumSGPRsForWavesPerEU: 65
; NumVGPRsForWavesPerEU: 30
; Occupancy: 8
; WaveLimiterHint : 1
; COMPUTE_PGM_RSRC2:SCRATCH_EN: 0
; COMPUTE_PGM_RSRC2:USER_SGPR: 6
; COMPUTE_PGM_RSRC2:TRAP_HANDLER: 0
; COMPUTE_PGM_RSRC2:TGID_X_EN: 1
; COMPUTE_PGM_RSRC2:TGID_Y_EN: 0
; COMPUTE_PGM_RSRC2:TGID_Z_EN: 0
; COMPUTE_PGM_RSRC2:TIDIG_COMP_CNT: 0
	.section	.text._Z20BlockPrefixSumKernelILi64ELi16ELN6hipcub16HIPCUB_304000_NS18BlockScanAlgorithmE1EEvPKiPi,"axG",@progbits,_Z20BlockPrefixSumKernelILi64ELi16ELN6hipcub16HIPCUB_304000_NS18BlockScanAlgorithmE1EEvPKiPi,comdat
	.protected	_Z20BlockPrefixSumKernelILi64ELi16ELN6hipcub16HIPCUB_304000_NS18BlockScanAlgorithmE1EEvPKiPi ; -- Begin function _Z20BlockPrefixSumKernelILi64ELi16ELN6hipcub16HIPCUB_304000_NS18BlockScanAlgorithmE1EEvPKiPi
	.globl	_Z20BlockPrefixSumKernelILi64ELi16ELN6hipcub16HIPCUB_304000_NS18BlockScanAlgorithmE1EEvPKiPi
	.p2align	8
	.type	_Z20BlockPrefixSumKernelILi64ELi16ELN6hipcub16HIPCUB_304000_NS18BlockScanAlgorithmE1EEvPKiPi,@function
_Z20BlockPrefixSumKernelILi64ELi16ELN6hipcub16HIPCUB_304000_NS18BlockScanAlgorithmE1EEvPKiPi: ; @_Z20BlockPrefixSumKernelILi64ELi16ELN6hipcub16HIPCUB_304000_NS18BlockScanAlgorithmE1EEvPKiPi
; %bb.0:
	s_load_dwordx4 s[0:3], s[4:5], 0x0
	v_mbcnt_lo_u32_b32 v1, -1, 0
	v_mbcnt_hi_u32_b32 v19, -1, v1
	v_and_b32_e32 v1, 63, v19
	v_lshlrev_b32_e32 v2, 4, v0
	v_lshlrev_b32_e32 v17, 2, v1
	v_and_b32_e32 v3, 0x3c00, v2
	s_waitcnt lgkmcnt(0)
	v_mov_b32_e32 v1, s1
	v_add_co_u32_e32 v2, vcc, s0, v17
	v_addc_co_u32_e32 v1, vcc, 0, v1, vcc
	v_lshlrev_b32_e32 v18, 2, v3
	v_add_co_u32_e32 v20, vcc, v2, v18
	v_addc_co_u32_e32 v21, vcc, 0, v1, vcc
	global_load_dword v8, v[20:21], off
	global_load_dword v9, v[20:21], off offset:256
	global_load_dword v10, v[20:21], off offset:512
	global_load_dword v11, v[20:21], off offset:768
	global_load_dword v12, v[20:21], off offset:1024
	global_load_dword v13, v[20:21], off offset:1280
	global_load_dword v14, v[20:21], off offset:1536
	global_load_dword v15, v[20:21], off offset:1792
	global_load_dword v16, v[20:21], off offset:2048
	global_load_dword v31, v[20:21], off offset:2304
	global_load_dword v32, v[20:21], off offset:2560
	global_load_dword v7, v[20:21], off offset:2816
	global_load_dword v6, v[20:21], off offset:3072
	global_load_dword v5, v[20:21], off offset:3328
	global_load_dword v2, v[20:21], off offset:3584
	global_load_dword v1, v[20:21], off offset:3840
	v_or_b32_e32 v3, v19, v3
	v_lshrrev_b32_e32 v20, 3, v3
	v_add_u32_e32 v21, 64, v3
	v_or_b32_e32 v22, 0x80, v3
	v_add_u32_e32 v23, 0xc0, v3
	v_or_b32_e32 v24, 0x100, v3
	;; [unrolled: 2-line block ×5, first 2 shown]
	v_lshlrev_b32_e32 v4, 2, v3
	v_and_b32_e32 v20, 0x78c, v20
	v_lshrrev_b32_e32 v21, 3, v21
	v_lshrrev_b32_e32 v22, 3, v22
	;; [unrolled: 1-line block ×10, first 2 shown]
	v_add_u32_e32 v20, v20, v4
	v_and_b32_e32 v21, 0x79c, v21
	v_and_b32_e32 v22, 0x79c, v22
	v_and_b32_e32 v23, 0x7bc, v23
	v_and_b32_e32 v24, 0x7ac, v24
	v_and_b32_e32 v25, 0x7bc, v25
	v_and_b32_e32 v26, 0x7bc, v26
	v_and_b32_e32 v27, 0x7fc, v27
	v_and_b32_e32 v28, 0x7cc, v28
	v_and_b32_e32 v29, 0x7dc, v29
	v_and_b32_e32 v30, 0x7dc, v30
	v_add_u32_e32 v21, v21, v4
	v_add_u32_e32 v22, v22, v4
	v_add_u32_e32 v23, v23, v4
	v_add_u32_e32 v24, v24, v4
	v_add_u32_e32 v25, v25, v4
	v_add_u32_e32 v26, v26, v4
	v_add_u32_e32 v27, v27, v4
	v_add_u32_e32 v28, v28, v4
	v_add_u32_e32 v29, v29, v4
	v_add_u32_e32 v30, v30, v4
	s_waitcnt vmcnt(15)
	ds_write_b32 v20, v8
	s_waitcnt vmcnt(14)
	ds_write_b32 v21, v9 offset:256
	s_waitcnt vmcnt(13)
	ds_write_b32 v22, v10 offset:512
	;; [unrolled: 2-line block ×10, first 2 shown]
	v_add_u32_e32 v8, 0x2c0, v3
	v_lshrrev_b32_e32 v8, 3, v8
	v_and_b32_e32 v8, 0x7fc, v8
	v_add_u32_e32 v31, v8, v4
	s_waitcnt vmcnt(4)
	ds_write_b32 v31, v7 offset:2816
	v_or_b32_e32 v7, 0x300, v3
	v_lshrrev_b32_e32 v7, 3, v7
	v_and_b32_e32 v7, 0x7ec, v7
	v_add_u32_e32 v32, v7, v4
	s_waitcnt vmcnt(3)
	ds_write_b32 v32, v6 offset:3072
	v_add_u32_e32 v6, 0x340, v3
	v_lshrrev_b32_e32 v6, 3, v6
	v_and_b32_e32 v6, 0x7fc, v6
	v_add_u32_e32 v33, v6, v4
	s_waitcnt vmcnt(2)
	ds_write_b32 v33, v5 offset:3328
	v_or_b32_e32 v5, 0x380, v3
	v_lshrrev_b32_e32 v5, 3, v5
	v_and_b32_e32 v5, 0x7fc, v5
	v_add_u32_e32 v34, v5, v4
	s_waitcnt vmcnt(1)
	ds_write_b32 v34, v2 offset:3584
	v_add_u32_e32 v2, 0x3c0, v3
	v_lshrrev_b32_e32 v2, 3, v2
	v_and_b32_e32 v2, 0xffc, v2
	v_add_u32_e32 v35, v2, v4
	s_waitcnt vmcnt(0)
	ds_write_b32 v35, v1 offset:3840
	v_and_b32_e32 v1, 0x3c0, v0
	v_add_u32_e32 v1, v19, v1
	v_lshlrev_b32_e32 v2, 4, v1
	v_bfe_u32 v1, v1, 1, 27
	v_add_lshl_u32 v36, v1, v2, 2
	; wave barrier
	ds_read2_b32 v[3:4], v36 offset1:1
	ds_read2_b32 v[1:2], v36 offset0:2 offset1:3
	ds_read2_b32 v[5:6], v36 offset0:4 offset1:5
	;; [unrolled: 1-line block ×3, first 2 shown]
	s_waitcnt lgkmcnt(3)
	v_add_u32_e32 v9, v4, v3
	s_waitcnt lgkmcnt(2)
	v_add3_u32 v9, v9, v1, v2
	s_waitcnt lgkmcnt(1)
	v_add3_u32 v9, v9, v5, v6
	;; [unrolled: 2-line block ×3, first 2 shown]
	ds_read2_b32 v[9:10], v36 offset0:8 offset1:9
	ds_read2_b32 v[11:12], v36 offset0:10 offset1:11
	;; [unrolled: 1-line block ×4, first 2 shown]
	s_waitcnt lgkmcnt(0)
	v_add3_u32 v37, v37, v9, v10
	v_add3_u32 v37, v37, v11, v12
	v_add3_u32 v37, v37, v13, v14
	v_add3_u32 v16, v37, v15, v16
	v_and_b32_e32 v37, 15, v19
	v_cmp_ne_u32_e32 vcc, 0, v37
	v_mov_b32_dpp v38, v16 row_shr:1 row_mask:0xf bank_mask:0xf
	v_cndmask_b32_e32 v38, 0, v38, vcc
	v_add_u32_e32 v16, v38, v16
	v_cmp_lt_u32_e32 vcc, 1, v37
	s_barrier
	v_mov_b32_dpp v38, v16 row_shr:2 row_mask:0xf bank_mask:0xf
	v_cndmask_b32_e32 v38, 0, v38, vcc
	v_add_u32_e32 v16, v16, v38
	v_cmp_lt_u32_e32 vcc, 3, v37
	s_nop 0
	v_mov_b32_dpp v38, v16 row_shr:4 row_mask:0xf bank_mask:0xf
	v_cndmask_b32_e32 v38, 0, v38, vcc
	v_add_u32_e32 v16, v16, v38
	v_cmp_lt_u32_e32 vcc, 7, v37
	s_nop 0
	v_mov_b32_dpp v38, v16 row_shr:8 row_mask:0xf bank_mask:0xf
	v_cndmask_b32_e32 v37, 0, v38, vcc
	v_add_u32_e32 v16, v16, v37
	v_bfe_i32 v38, v19, 4, 1
	v_cmp_lt_u32_e32 vcc, 31, v19
	v_mov_b32_dpp v37, v16 row_bcast:15 row_mask:0xf bank_mask:0xf
	v_and_b32_e32 v37, v38, v37
	v_add_u32_e32 v16, v16, v37
	s_nop 1
	v_mov_b32_dpp v37, v16 row_bcast:31 row_mask:0xf bank_mask:0xf
	v_cndmask_b32_e32 v37, 0, v37, vcc
	v_add_u32_e32 v37, v16, v37
	v_cmp_eq_u32_e32 vcc, 63, v0
	v_mov_b32_e32 v16, 0
	s_and_saveexec_b64 s[0:1], vcc
; %bb.1:
	ds_write_b32 v16, v37
; %bb.2:
	s_or_b64 exec, exec, s[0:1]
	v_subrev_co_u32_e32 v38, vcc, 1, v19
	v_and_b32_e32 v39, 64, v19
	v_cmp_lt_i32_e64 s[0:1], v38, v39
	v_cndmask_b32_e64 v19, v38, v19, s[0:1]
	v_lshlrev_b32_e32 v19, 2, v19
	ds_bpermute_b32 v19, v19, v37
	v_cmp_eq_u32_e64 s[0:1], 0, v0
	s_or_b64 s[4:5], s[0:1], vcc
	s_waitcnt lgkmcnt(0)
	s_barrier
	v_cndmask_b32_e64 v19, v19, 0, s[4:5]
	v_add_u32_e32 v3, v19, v3
	v_add_u32_e32 v4, v3, v4
	;; [unrolled: 1-line block ×15, first 2 shown]
	ds_read_b32 v0, v16
	s_waitcnt lgkmcnt(0)
	s_barrier
	ds_write2_b32 v36, v19, v3 offset1:1
	ds_write2_b32 v36, v4, v1 offset0:2 offset1:3
	ds_write2_b32 v36, v2, v5 offset0:4 offset1:5
	;; [unrolled: 1-line block ×7, first 2 shown]
	; wave barrier
	ds_read_b32 v3, v20
	ds_read_b32 v4, v21 offset:256
	ds_read_b32 v5, v22 offset:512
	;; [unrolled: 1-line block ×15, first 2 shown]
	v_mov_b32_e32 v1, s3
	v_add_co_u32_e32 v2, vcc, s2, v17
	v_addc_co_u32_e32 v17, vcc, 0, v1, vcc
	v_add_co_u32_e32 v1, vcc, v2, v18
	v_addc_co_u32_e32 v2, vcc, 0, v17, vcc
	s_waitcnt lgkmcnt(14)
	global_store_dword v[1:2], v3, off
	global_store_dword v[1:2], v4, off offset:256
	s_waitcnt lgkmcnt(13)
	global_store_dword v[1:2], v5, off offset:512
	s_waitcnt lgkmcnt(12)
	;; [unrolled: 2-line block ×14, first 2 shown]
	global_store_dword v[1:2], v20, off offset:3840
	s_and_saveexec_b64 s[4:5], s[0:1]
	s_cbranch_execz .LBB4_4
; %bb.3:
	v_mov_b32_e32 v1, 0x1000
	global_store_dword v1, v0, s[2:3]
.LBB4_4:
	s_endpgm
	.section	.rodata,"a",@progbits
	.p2align	6, 0x0
	.amdhsa_kernel _Z20BlockPrefixSumKernelILi64ELi16ELN6hipcub16HIPCUB_304000_NS18BlockScanAlgorithmE1EEvPKiPi
		.amdhsa_group_segment_fixed_size 4224
		.amdhsa_private_segment_fixed_size 0
		.amdhsa_kernarg_size 16
		.amdhsa_user_sgpr_count 6
		.amdhsa_user_sgpr_private_segment_buffer 1
		.amdhsa_user_sgpr_dispatch_ptr 0
		.amdhsa_user_sgpr_queue_ptr 0
		.amdhsa_user_sgpr_kernarg_segment_ptr 1
		.amdhsa_user_sgpr_dispatch_id 0
		.amdhsa_user_sgpr_flat_scratch_init 0
		.amdhsa_user_sgpr_private_segment_size 0
		.amdhsa_uses_dynamic_stack 0
		.amdhsa_system_sgpr_private_segment_wavefront_offset 0
		.amdhsa_system_sgpr_workgroup_id_x 1
		.amdhsa_system_sgpr_workgroup_id_y 0
		.amdhsa_system_sgpr_workgroup_id_z 0
		.amdhsa_system_sgpr_workgroup_info 0
		.amdhsa_system_vgpr_workitem_id 0
		.amdhsa_next_free_vgpr 40
		.amdhsa_next_free_sgpr 61
		.amdhsa_reserve_vcc 1
		.amdhsa_reserve_flat_scratch 0
		.amdhsa_float_round_mode_32 0
		.amdhsa_float_round_mode_16_64 0
		.amdhsa_float_denorm_mode_32 3
		.amdhsa_float_denorm_mode_16_64 3
		.amdhsa_dx10_clamp 1
		.amdhsa_ieee_mode 1
		.amdhsa_fp16_overflow 0
		.amdhsa_exception_fp_ieee_invalid_op 0
		.amdhsa_exception_fp_denorm_src 0
		.amdhsa_exception_fp_ieee_div_zero 0
		.amdhsa_exception_fp_ieee_overflow 0
		.amdhsa_exception_fp_ieee_underflow 0
		.amdhsa_exception_fp_ieee_inexact 0
		.amdhsa_exception_int_div_zero 0
	.end_amdhsa_kernel
	.section	.text._Z20BlockPrefixSumKernelILi64ELi16ELN6hipcub16HIPCUB_304000_NS18BlockScanAlgorithmE1EEvPKiPi,"axG",@progbits,_Z20BlockPrefixSumKernelILi64ELi16ELN6hipcub16HIPCUB_304000_NS18BlockScanAlgorithmE1EEvPKiPi,comdat
.Lfunc_end4:
	.size	_Z20BlockPrefixSumKernelILi64ELi16ELN6hipcub16HIPCUB_304000_NS18BlockScanAlgorithmE1EEvPKiPi, .Lfunc_end4-_Z20BlockPrefixSumKernelILi64ELi16ELN6hipcub16HIPCUB_304000_NS18BlockScanAlgorithmE1EEvPKiPi
                                        ; -- End function
	.set _Z20BlockPrefixSumKernelILi64ELi16ELN6hipcub16HIPCUB_304000_NS18BlockScanAlgorithmE1EEvPKiPi.num_vgpr, 40
	.set _Z20BlockPrefixSumKernelILi64ELi16ELN6hipcub16HIPCUB_304000_NS18BlockScanAlgorithmE1EEvPKiPi.num_agpr, 0
	.set _Z20BlockPrefixSumKernelILi64ELi16ELN6hipcub16HIPCUB_304000_NS18BlockScanAlgorithmE1EEvPKiPi.numbered_sgpr, 6
	.set _Z20BlockPrefixSumKernelILi64ELi16ELN6hipcub16HIPCUB_304000_NS18BlockScanAlgorithmE1EEvPKiPi.num_named_barrier, 0
	.set _Z20BlockPrefixSumKernelILi64ELi16ELN6hipcub16HIPCUB_304000_NS18BlockScanAlgorithmE1EEvPKiPi.private_seg_size, 0
	.set _Z20BlockPrefixSumKernelILi64ELi16ELN6hipcub16HIPCUB_304000_NS18BlockScanAlgorithmE1EEvPKiPi.uses_vcc, 1
	.set _Z20BlockPrefixSumKernelILi64ELi16ELN6hipcub16HIPCUB_304000_NS18BlockScanAlgorithmE1EEvPKiPi.uses_flat_scratch, 0
	.set _Z20BlockPrefixSumKernelILi64ELi16ELN6hipcub16HIPCUB_304000_NS18BlockScanAlgorithmE1EEvPKiPi.has_dyn_sized_stack, 0
	.set _Z20BlockPrefixSumKernelILi64ELi16ELN6hipcub16HIPCUB_304000_NS18BlockScanAlgorithmE1EEvPKiPi.has_recursion, 0
	.set _Z20BlockPrefixSumKernelILi64ELi16ELN6hipcub16HIPCUB_304000_NS18BlockScanAlgorithmE1EEvPKiPi.has_indirect_call, 0
	.section	.AMDGPU.csdata,"",@progbits
; Kernel info:
; codeLenInByte = 1684
; TotalNumSgprs: 10
; NumVgprs: 40
; ScratchSize: 0
; MemoryBound: 0
; FloatMode: 240
; IeeeMode: 1
; LDSByteSize: 4224 bytes/workgroup (compile time only)
; SGPRBlocks: 8
; VGPRBlocks: 9
; NumSGPRsForWavesPerEU: 65
; NumVGPRsForWavesPerEU: 40
; Occupancy: 6
; WaveLimiterHint : 1
; COMPUTE_PGM_RSRC2:SCRATCH_EN: 0
; COMPUTE_PGM_RSRC2:USER_SGPR: 6
; COMPUTE_PGM_RSRC2:TRAP_HANDLER: 0
; COMPUTE_PGM_RSRC2:TGID_X_EN: 1
; COMPUTE_PGM_RSRC2:TGID_Y_EN: 0
; COMPUTE_PGM_RSRC2:TGID_Z_EN: 0
; COMPUTE_PGM_RSRC2:TIDIG_COMP_CNT: 0
	.section	.text._Z20BlockPrefixSumKernelILi1024ELi1ELN6hipcub16HIPCUB_304000_NS18BlockScanAlgorithmE0EEvPKiPi,"axG",@progbits,_Z20BlockPrefixSumKernelILi1024ELi1ELN6hipcub16HIPCUB_304000_NS18BlockScanAlgorithmE0EEvPKiPi,comdat
	.protected	_Z20BlockPrefixSumKernelILi1024ELi1ELN6hipcub16HIPCUB_304000_NS18BlockScanAlgorithmE0EEvPKiPi ; -- Begin function _Z20BlockPrefixSumKernelILi1024ELi1ELN6hipcub16HIPCUB_304000_NS18BlockScanAlgorithmE0EEvPKiPi
	.globl	_Z20BlockPrefixSumKernelILi1024ELi1ELN6hipcub16HIPCUB_304000_NS18BlockScanAlgorithmE0EEvPKiPi
	.p2align	8
	.type	_Z20BlockPrefixSumKernelILi1024ELi1ELN6hipcub16HIPCUB_304000_NS18BlockScanAlgorithmE0EEvPKiPi,@function
_Z20BlockPrefixSumKernelILi1024ELi1ELN6hipcub16HIPCUB_304000_NS18BlockScanAlgorithmE0EEvPKiPi: ; @_Z20BlockPrefixSumKernelILi1024ELi1ELN6hipcub16HIPCUB_304000_NS18BlockScanAlgorithmE0EEvPKiPi
; %bb.0:
	s_load_dwordx4 s[8:11], s[4:5], 0x0
	v_mbcnt_lo_u32_b32 v1, -1, 0
	v_mbcnt_hi_u32_b32 v3, -1, v1
	v_and_b32_e32 v1, 63, v3
	v_lshlrev_b32_e32 v1, 2, v1
	v_and_b32_e32 v2, 0x3c0, v0
	s_waitcnt lgkmcnt(0)
	v_mov_b32_e32 v4, s9
	v_add_co_u32_e32 v5, vcc, s8, v1
	v_addc_co_u32_e32 v6, vcc, 0, v4, vcc
	v_lshlrev_b32_e32 v2, 2, v2
	v_add_co_u32_e32 v4, vcc, v5, v2
	v_addc_co_u32_e32 v5, vcc, 0, v6, vcc
	global_load_dword v6, v[4:5], off
	v_lshl_add_u32 v4, v3, 2, v2
	v_and_b32_e32 v8, 15, v3
	v_cmp_eq_u32_e32 vcc, 0, v8
	v_cmp_lt_u32_e64 s[0:1], 1, v8
	v_cmp_lt_u32_e64 s[2:3], 3, v8
	;; [unrolled: 1-line block ×3, first 2 shown]
	v_bfe_i32 v9, v3, 4, 1
	v_cmp_lt_u32_e64 s[6:7], 31, v3
	v_and_b32_e32 v7, 63, v0
	v_lshrrev_b32_e32 v5, 6, v0
	s_waitcnt vmcnt(0)
	ds_write_b32 v4, v6
	; wave barrier
	ds_read_b32 v6, v4
	s_waitcnt lgkmcnt(0)
	s_barrier
	v_mov_b32_dpp v10, v6 row_shr:1 row_mask:0xf bank_mask:0xf
	v_cndmask_b32_e64 v10, v10, 0, vcc
	v_add_u32_e32 v6, v10, v6
	s_nop 1
	v_mov_b32_dpp v10, v6 row_shr:2 row_mask:0xf bank_mask:0xf
	v_cndmask_b32_e64 v10, 0, v10, s[0:1]
	v_add_u32_e32 v6, v6, v10
	s_nop 1
	v_mov_b32_dpp v10, v6 row_shr:4 row_mask:0xf bank_mask:0xf
	v_cndmask_b32_e64 v10, 0, v10, s[2:3]
	;; [unrolled: 4-line block ×3, first 2 shown]
	v_add_u32_e32 v6, v6, v8
	s_nop 1
	v_mov_b32_dpp v8, v6 row_bcast:15 row_mask:0xf bank_mask:0xf
	v_and_b32_e32 v8, v9, v8
	v_add_u32_e32 v6, v6, v8
	s_nop 1
	v_mov_b32_dpp v8, v6 row_bcast:31 row_mask:0xf bank_mask:0xf
	v_cndmask_b32_e64 v8, 0, v8, s[6:7]
	v_add_u32_e32 v6, v6, v8
	v_cmp_eq_u32_e64 s[6:7], 63, v7
	s_and_saveexec_b64 s[8:9], s[6:7]
; %bb.1:
	v_lshlrev_b32_e32 v7, 2, v5
	ds_write_b32 v7, v6
; %bb.2:
	s_or_b64 exec, exec, s[8:9]
	v_cmp_gt_u32_e64 s[6:7], 16, v0
	s_waitcnt lgkmcnt(0)
	s_barrier
	s_and_saveexec_b64 s[8:9], s[6:7]
	s_cbranch_execz .LBB5_4
; %bb.3:
	v_lshlrev_b32_e32 v7, 2, v0
	ds_read_b32 v8, v7
	s_waitcnt lgkmcnt(0)
	s_nop 0
	v_mov_b32_dpp v9, v8 row_shr:1 row_mask:0xf bank_mask:0xf
	v_cndmask_b32_e64 v9, v9, 0, vcc
	v_add_u32_e32 v8, v9, v8
	s_nop 1
	v_mov_b32_dpp v9, v8 row_shr:2 row_mask:0xf bank_mask:0xf
	v_cndmask_b32_e64 v9, 0, v9, s[0:1]
	v_add_u32_e32 v8, v8, v9
	s_nop 1
	v_mov_b32_dpp v9, v8 row_shr:4 row_mask:0xf bank_mask:0xf
	v_cndmask_b32_e64 v9, 0, v9, s[2:3]
	;; [unrolled: 4-line block ×3, first 2 shown]
	v_add_u32_e32 v8, v8, v9
	ds_write_b32 v7, v8
.LBB5_4:
	s_or_b64 exec, exec, s[8:9]
	v_cmp_lt_u32_e32 vcc, 63, v0
	v_mov_b32_e32 v7, 0
	v_mov_b32_e32 v8, 0
	s_waitcnt lgkmcnt(0)
	s_barrier
	s_and_saveexec_b64 s[0:1], vcc
; %bb.5:
	v_lshl_add_u32 v5, v5, 2, -4
	ds_read_b32 v8, v5
; %bb.6:
	s_or_b64 exec, exec, s[0:1]
	s_waitcnt lgkmcnt(0)
	v_add_u32_e32 v5, v8, v6
	v_subrev_co_u32_e32 v6, vcc, 1, v3
	v_and_b32_e32 v9, 64, v3
	v_cmp_lt_i32_e64 s[0:1], v6, v9
	v_cndmask_b32_e64 v3, v6, v3, s[0:1]
	v_lshlrev_b32_e32 v3, 2, v3
	ds_bpermute_b32 v3, v3, v5
	s_waitcnt lgkmcnt(0)
	v_cndmask_b32_e32 v5, v3, v8, vcc
	ds_read_b32 v3, v7 offset:60
	s_waitcnt lgkmcnt(0)
	s_barrier
	ds_write_b32 v4, v5
	; wave barrier
	ds_read_b32 v4, v4
	v_mov_b32_e32 v5, s11
	v_add_co_u32_e32 v1, vcc, s10, v1
	v_addc_co_u32_e32 v5, vcc, 0, v5, vcc
	v_add_co_u32_e32 v1, vcc, v1, v2
	v_addc_co_u32_e32 v2, vcc, 0, v5, vcc
	v_cmp_eq_u32_e32 vcc, 0, v0
	s_waitcnt lgkmcnt(0)
	global_store_dword v[1:2], v4, off
	s_and_saveexec_b64 s[0:1], vcc
	s_cbranch_execz .LBB5_8
; %bb.7:
	v_mov_b32_e32 v0, 0x1000
	global_store_dword v0, v3, s[10:11]
.LBB5_8:
	s_endpgm
	.section	.rodata,"a",@progbits
	.p2align	6, 0x0
	.amdhsa_kernel _Z20BlockPrefixSumKernelILi1024ELi1ELN6hipcub16HIPCUB_304000_NS18BlockScanAlgorithmE0EEvPKiPi
		.amdhsa_group_segment_fixed_size 4096
		.amdhsa_private_segment_fixed_size 0
		.amdhsa_kernarg_size 16
		.amdhsa_user_sgpr_count 6
		.amdhsa_user_sgpr_private_segment_buffer 1
		.amdhsa_user_sgpr_dispatch_ptr 0
		.amdhsa_user_sgpr_queue_ptr 0
		.amdhsa_user_sgpr_kernarg_segment_ptr 1
		.amdhsa_user_sgpr_dispatch_id 0
		.amdhsa_user_sgpr_flat_scratch_init 0
		.amdhsa_user_sgpr_private_segment_size 0
		.amdhsa_uses_dynamic_stack 0
		.amdhsa_system_sgpr_private_segment_wavefront_offset 0
		.amdhsa_system_sgpr_workgroup_id_x 1
		.amdhsa_system_sgpr_workgroup_id_y 0
		.amdhsa_system_sgpr_workgroup_id_z 0
		.amdhsa_system_sgpr_workgroup_info 0
		.amdhsa_system_vgpr_workitem_id 0
		.amdhsa_next_free_vgpr 29
		.amdhsa_next_free_sgpr 61
		.amdhsa_reserve_vcc 1
		.amdhsa_reserve_flat_scratch 0
		.amdhsa_float_round_mode_32 0
		.amdhsa_float_round_mode_16_64 0
		.amdhsa_float_denorm_mode_32 3
		.amdhsa_float_denorm_mode_16_64 3
		.amdhsa_dx10_clamp 1
		.amdhsa_ieee_mode 1
		.amdhsa_fp16_overflow 0
		.amdhsa_exception_fp_ieee_invalid_op 0
		.amdhsa_exception_fp_denorm_src 0
		.amdhsa_exception_fp_ieee_div_zero 0
		.amdhsa_exception_fp_ieee_overflow 0
		.amdhsa_exception_fp_ieee_underflow 0
		.amdhsa_exception_fp_ieee_inexact 0
		.amdhsa_exception_int_div_zero 0
	.end_amdhsa_kernel
	.section	.text._Z20BlockPrefixSumKernelILi1024ELi1ELN6hipcub16HIPCUB_304000_NS18BlockScanAlgorithmE0EEvPKiPi,"axG",@progbits,_Z20BlockPrefixSumKernelILi1024ELi1ELN6hipcub16HIPCUB_304000_NS18BlockScanAlgorithmE0EEvPKiPi,comdat
.Lfunc_end5:
	.size	_Z20BlockPrefixSumKernelILi1024ELi1ELN6hipcub16HIPCUB_304000_NS18BlockScanAlgorithmE0EEvPKiPi, .Lfunc_end5-_Z20BlockPrefixSumKernelILi1024ELi1ELN6hipcub16HIPCUB_304000_NS18BlockScanAlgorithmE0EEvPKiPi
                                        ; -- End function
	.set _Z20BlockPrefixSumKernelILi1024ELi1ELN6hipcub16HIPCUB_304000_NS18BlockScanAlgorithmE0EEvPKiPi.num_vgpr, 11
	.set _Z20BlockPrefixSumKernelILi1024ELi1ELN6hipcub16HIPCUB_304000_NS18BlockScanAlgorithmE0EEvPKiPi.num_agpr, 0
	.set _Z20BlockPrefixSumKernelILi1024ELi1ELN6hipcub16HIPCUB_304000_NS18BlockScanAlgorithmE0EEvPKiPi.numbered_sgpr, 12
	.set _Z20BlockPrefixSumKernelILi1024ELi1ELN6hipcub16HIPCUB_304000_NS18BlockScanAlgorithmE0EEvPKiPi.num_named_barrier, 0
	.set _Z20BlockPrefixSumKernelILi1024ELi1ELN6hipcub16HIPCUB_304000_NS18BlockScanAlgorithmE0EEvPKiPi.private_seg_size, 0
	.set _Z20BlockPrefixSumKernelILi1024ELi1ELN6hipcub16HIPCUB_304000_NS18BlockScanAlgorithmE0EEvPKiPi.uses_vcc, 1
	.set _Z20BlockPrefixSumKernelILi1024ELi1ELN6hipcub16HIPCUB_304000_NS18BlockScanAlgorithmE0EEvPKiPi.uses_flat_scratch, 0
	.set _Z20BlockPrefixSumKernelILi1024ELi1ELN6hipcub16HIPCUB_304000_NS18BlockScanAlgorithmE0EEvPKiPi.has_dyn_sized_stack, 0
	.set _Z20BlockPrefixSumKernelILi1024ELi1ELN6hipcub16HIPCUB_304000_NS18BlockScanAlgorithmE0EEvPKiPi.has_recursion, 0
	.set _Z20BlockPrefixSumKernelILi1024ELi1ELN6hipcub16HIPCUB_304000_NS18BlockScanAlgorithmE0EEvPKiPi.has_indirect_call, 0
	.section	.AMDGPU.csdata,"",@progbits
; Kernel info:
; codeLenInByte = 672
; TotalNumSgprs: 16
; NumVgprs: 11
; ScratchSize: 0
; MemoryBound: 0
; FloatMode: 240
; IeeeMode: 1
; LDSByteSize: 4096 bytes/workgroup (compile time only)
; SGPRBlocks: 8
; VGPRBlocks: 7
; NumSGPRsForWavesPerEU: 65
; NumVGPRsForWavesPerEU: 29
; Occupancy: 8
; WaveLimiterHint : 0
; COMPUTE_PGM_RSRC2:SCRATCH_EN: 0
; COMPUTE_PGM_RSRC2:USER_SGPR: 6
; COMPUTE_PGM_RSRC2:TRAP_HANDLER: 0
; COMPUTE_PGM_RSRC2:TGID_X_EN: 1
; COMPUTE_PGM_RSRC2:TGID_Y_EN: 0
; COMPUTE_PGM_RSRC2:TGID_Z_EN: 0
; COMPUTE_PGM_RSRC2:TIDIG_COMP_CNT: 0
	.section	.text._Z20BlockPrefixSumKernelILi512ELi2ELN6hipcub16HIPCUB_304000_NS18BlockScanAlgorithmE0EEvPKiPi,"axG",@progbits,_Z20BlockPrefixSumKernelILi512ELi2ELN6hipcub16HIPCUB_304000_NS18BlockScanAlgorithmE0EEvPKiPi,comdat
	.protected	_Z20BlockPrefixSumKernelILi512ELi2ELN6hipcub16HIPCUB_304000_NS18BlockScanAlgorithmE0EEvPKiPi ; -- Begin function _Z20BlockPrefixSumKernelILi512ELi2ELN6hipcub16HIPCUB_304000_NS18BlockScanAlgorithmE0EEvPKiPi
	.globl	_Z20BlockPrefixSumKernelILi512ELi2ELN6hipcub16HIPCUB_304000_NS18BlockScanAlgorithmE0EEvPKiPi
	.p2align	8
	.type	_Z20BlockPrefixSumKernelILi512ELi2ELN6hipcub16HIPCUB_304000_NS18BlockScanAlgorithmE0EEvPKiPi,@function
_Z20BlockPrefixSumKernelILi512ELi2ELN6hipcub16HIPCUB_304000_NS18BlockScanAlgorithmE0EEvPKiPi: ; @_Z20BlockPrefixSumKernelILi512ELi2ELN6hipcub16HIPCUB_304000_NS18BlockScanAlgorithmE0EEvPKiPi
; %bb.0:
	s_load_dwordx4 s[0:3], s[4:5], 0x0
	v_mbcnt_lo_u32_b32 v1, -1, 0
	v_mbcnt_hi_u32_b32 v5, -1, v1
	v_and_b32_e32 v1, 63, v5
	v_lshlrev_b32_e32 v2, 1, v0
	v_lshlrev_b32_e32 v3, 2, v1
	v_and_b32_e32 v6, 0x780, v2
	s_waitcnt lgkmcnt(0)
	v_mov_b32_e32 v1, s1
	v_add_co_u32_e32 v2, vcc, s0, v3
	v_addc_co_u32_e32 v7, vcc, 0, v1, vcc
	v_lshlrev_b32_e32 v4, 2, v6
	v_add_co_u32_e32 v1, vcc, v2, v4
	v_addc_co_u32_e32 v2, vcc, 0, v7, vcc
	global_load_dword v10, v[1:2], off
	global_load_dword v11, v[1:2], off offset:256
	v_and_b32_e32 v1, 0x3c0, v0
	v_add_u32_e32 v2, v5, v1
	v_min_u32_e32 v14, 0x1c0, v1
	v_or_b32_e32 v1, v5, v6
	v_lshlrev_b32_e32 v6, 1, v2
	v_bfe_u32 v2, v2, 4, 27
	v_lshrrev_b32_e32 v7, 3, v1
	v_lshlrev_b32_e32 v15, 2, v1
	v_add_u32_e32 v1, 64, v1
	v_add_lshl_u32 v8, v2, v6, 2
	v_and_b32_e32 v2, 0xfc, v7
	v_lshrrev_b32_e32 v1, 3, v1
	v_add_u32_e32 v6, v2, v15
	v_and_b32_e32 v1, 0x1fc, v1
	v_add_u32_e32 v7, v1, v15
	v_and_b32_e32 v12, 15, v5
	v_cmp_ne_u32_e32 vcc, 0, v12
	v_bfe_i32 v13, v5, 4, 1
	v_lshrrev_b32_e32 v9, 6, v0
	s_waitcnt vmcnt(1)
	ds_write_b32 v6, v10
	s_waitcnt vmcnt(0)
	ds_write_b32 v7, v11 offset:256
	; wave barrier
	ds_read2_b32 v[1:2], v8 offset1:1
	v_or_b32_e32 v10, 63, v14
	s_waitcnt lgkmcnt(0)
	s_barrier
	v_add_u32_e32 v2, v2, v1
	s_nop 1
	v_mov_b32_dpp v11, v2 row_shr:1 row_mask:0xf bank_mask:0xf
	v_cndmask_b32_e32 v11, 0, v11, vcc
	v_add_u32_e32 v2, v11, v2
	v_cmp_lt_u32_e32 vcc, 1, v12
	s_nop 0
	v_mov_b32_dpp v11, v2 row_shr:2 row_mask:0xf bank_mask:0xf
	v_cndmask_b32_e32 v11, 0, v11, vcc
	v_add_u32_e32 v2, v2, v11
	v_cmp_lt_u32_e32 vcc, 3, v12
	;; [unrolled: 5-line block ×4, first 2 shown]
	s_nop 0
	v_mov_b32_dpp v11, v2 row_bcast:15 row_mask:0xf bank_mask:0xf
	v_and_b32_e32 v11, v13, v11
	v_add_u32_e32 v2, v2, v11
	s_nop 1
	v_mov_b32_dpp v11, v2 row_bcast:31 row_mask:0xf bank_mask:0xf
	v_cndmask_b32_e32 v11, 0, v11, vcc
	v_add_u32_e32 v2, v2, v11
	v_cmp_eq_u32_e32 vcc, v0, v10
	s_and_saveexec_b64 s[0:1], vcc
; %bb.1:
	v_lshlrev_b32_e32 v10, 2, v9
	ds_write_b32 v10, v2
; %bb.2:
	s_or_b64 exec, exec, s[0:1]
	v_cmp_gt_u32_e32 vcc, 8, v0
	s_waitcnt lgkmcnt(0)
	s_barrier
	s_and_saveexec_b64 s[0:1], vcc
	s_cbranch_execz .LBB6_4
; %bb.3:
	v_lshlrev_b32_e32 v10, 2, v0
	ds_read_b32 v11, v10
	v_and_b32_e32 v12, 7, v5
	v_cmp_ne_u32_e32 vcc, 0, v12
	s_waitcnt lgkmcnt(0)
	v_mov_b32_dpp v13, v11 row_shr:1 row_mask:0xf bank_mask:0xf
	v_cndmask_b32_e32 v13, 0, v13, vcc
	v_add_u32_e32 v11, v13, v11
	v_cmp_lt_u32_e32 vcc, 1, v12
	s_nop 0
	v_mov_b32_dpp v13, v11 row_shr:2 row_mask:0xf bank_mask:0xf
	v_cndmask_b32_e32 v13, 0, v13, vcc
	v_add_u32_e32 v11, v11, v13
	v_cmp_lt_u32_e32 vcc, 3, v12
	s_nop 0
	v_mov_b32_dpp v13, v11 row_shr:4 row_mask:0xf bank_mask:0xf
	v_cndmask_b32_e32 v12, 0, v13, vcc
	v_add_u32_e32 v11, v11, v12
	ds_write_b32 v10, v11
.LBB6_4:
	s_or_b64 exec, exec, s[0:1]
	v_cmp_lt_u32_e32 vcc, 63, v0
	v_mov_b32_e32 v10, 0
	v_mov_b32_e32 v11, 0
	s_waitcnt lgkmcnt(0)
	s_barrier
	s_and_saveexec_b64 s[0:1], vcc
; %bb.5:
	v_lshl_add_u32 v9, v9, 2, -4
	ds_read_b32 v11, v9
; %bb.6:
	s_or_b64 exec, exec, s[0:1]
	v_subrev_co_u32_e32 v9, vcc, 1, v5
	v_and_b32_e32 v12, 64, v5
	v_cmp_lt_i32_e64 s[0:1], v9, v12
	v_cndmask_b32_e64 v5, v9, v5, s[0:1]
	s_waitcnt lgkmcnt(0)
	v_add_u32_e32 v2, v11, v2
	v_lshlrev_b32_e32 v5, 2, v5
	ds_bpermute_b32 v2, v5, v2
	s_waitcnt lgkmcnt(0)
	v_cndmask_b32_e32 v2, v2, v11, vcc
	v_cmp_eq_u32_e32 vcc, 0, v0
	v_cndmask_b32_e64 v2, v2, 0, vcc
	v_add_u32_e32 v1, v2, v1
	ds_read_b32 v0, v10 offset:28
	s_waitcnt lgkmcnt(0)
	s_barrier
	ds_write2_b32 v8, v2, v1 offset1:1
	; wave barrier
	ds_read_b32 v5, v6
	ds_read_b32 v6, v7 offset:256
	v_mov_b32_e32 v1, s3
	v_add_co_u32_e64 v2, s[0:1], s2, v3
	v_addc_co_u32_e64 v3, s[0:1], 0, v1, s[0:1]
	v_add_co_u32_e64 v1, s[0:1], v2, v4
	v_addc_co_u32_e64 v2, s[0:1], 0, v3, s[0:1]
	s_waitcnt lgkmcnt(1)
	global_store_dword v[1:2], v5, off
	s_waitcnt lgkmcnt(0)
	global_store_dword v[1:2], v6, off offset:256
	s_and_saveexec_b64 s[0:1], vcc
	s_cbranch_execz .LBB6_8
; %bb.7:
	v_mov_b32_e32 v1, 0x1000
	global_store_dword v1, v0, s[2:3]
.LBB6_8:
	s_endpgm
	.section	.rodata,"a",@progbits
	.p2align	6, 0x0
	.amdhsa_kernel _Z20BlockPrefixSumKernelILi512ELi2ELN6hipcub16HIPCUB_304000_NS18BlockScanAlgorithmE0EEvPKiPi
		.amdhsa_group_segment_fixed_size 4224
		.amdhsa_private_segment_fixed_size 0
		.amdhsa_kernarg_size 16
		.amdhsa_user_sgpr_count 6
		.amdhsa_user_sgpr_private_segment_buffer 1
		.amdhsa_user_sgpr_dispatch_ptr 0
		.amdhsa_user_sgpr_queue_ptr 0
		.amdhsa_user_sgpr_kernarg_segment_ptr 1
		.amdhsa_user_sgpr_dispatch_id 0
		.amdhsa_user_sgpr_flat_scratch_init 0
		.amdhsa_user_sgpr_private_segment_size 0
		.amdhsa_uses_dynamic_stack 0
		.amdhsa_system_sgpr_private_segment_wavefront_offset 0
		.amdhsa_system_sgpr_workgroup_id_x 1
		.amdhsa_system_sgpr_workgroup_id_y 0
		.amdhsa_system_sgpr_workgroup_id_z 0
		.amdhsa_system_sgpr_workgroup_info 0
		.amdhsa_system_vgpr_workitem_id 0
		.amdhsa_next_free_vgpr 29
		.amdhsa_next_free_sgpr 61
		.amdhsa_reserve_vcc 1
		.amdhsa_reserve_flat_scratch 0
		.amdhsa_float_round_mode_32 0
		.amdhsa_float_round_mode_16_64 0
		.amdhsa_float_denorm_mode_32 3
		.amdhsa_float_denorm_mode_16_64 3
		.amdhsa_dx10_clamp 1
		.amdhsa_ieee_mode 1
		.amdhsa_fp16_overflow 0
		.amdhsa_exception_fp_ieee_invalid_op 0
		.amdhsa_exception_fp_denorm_src 0
		.amdhsa_exception_fp_ieee_div_zero 0
		.amdhsa_exception_fp_ieee_overflow 0
		.amdhsa_exception_fp_ieee_underflow 0
		.amdhsa_exception_fp_ieee_inexact 0
		.amdhsa_exception_int_div_zero 0
	.end_amdhsa_kernel
	.section	.text._Z20BlockPrefixSumKernelILi512ELi2ELN6hipcub16HIPCUB_304000_NS18BlockScanAlgorithmE0EEvPKiPi,"axG",@progbits,_Z20BlockPrefixSumKernelILi512ELi2ELN6hipcub16HIPCUB_304000_NS18BlockScanAlgorithmE0EEvPKiPi,comdat
.Lfunc_end6:
	.size	_Z20BlockPrefixSumKernelILi512ELi2ELN6hipcub16HIPCUB_304000_NS18BlockScanAlgorithmE0EEvPKiPi, .Lfunc_end6-_Z20BlockPrefixSumKernelILi512ELi2ELN6hipcub16HIPCUB_304000_NS18BlockScanAlgorithmE0EEvPKiPi
                                        ; -- End function
	.set _Z20BlockPrefixSumKernelILi512ELi2ELN6hipcub16HIPCUB_304000_NS18BlockScanAlgorithmE0EEvPKiPi.num_vgpr, 16
	.set _Z20BlockPrefixSumKernelILi512ELi2ELN6hipcub16HIPCUB_304000_NS18BlockScanAlgorithmE0EEvPKiPi.num_agpr, 0
	.set _Z20BlockPrefixSumKernelILi512ELi2ELN6hipcub16HIPCUB_304000_NS18BlockScanAlgorithmE0EEvPKiPi.numbered_sgpr, 6
	.set _Z20BlockPrefixSumKernelILi512ELi2ELN6hipcub16HIPCUB_304000_NS18BlockScanAlgorithmE0EEvPKiPi.num_named_barrier, 0
	.set _Z20BlockPrefixSumKernelILi512ELi2ELN6hipcub16HIPCUB_304000_NS18BlockScanAlgorithmE0EEvPKiPi.private_seg_size, 0
	.set _Z20BlockPrefixSumKernelILi512ELi2ELN6hipcub16HIPCUB_304000_NS18BlockScanAlgorithmE0EEvPKiPi.uses_vcc, 1
	.set _Z20BlockPrefixSumKernelILi512ELi2ELN6hipcub16HIPCUB_304000_NS18BlockScanAlgorithmE0EEvPKiPi.uses_flat_scratch, 0
	.set _Z20BlockPrefixSumKernelILi512ELi2ELN6hipcub16HIPCUB_304000_NS18BlockScanAlgorithmE0EEvPKiPi.has_dyn_sized_stack, 0
	.set _Z20BlockPrefixSumKernelILi512ELi2ELN6hipcub16HIPCUB_304000_NS18BlockScanAlgorithmE0EEvPKiPi.has_recursion, 0
	.set _Z20BlockPrefixSumKernelILi512ELi2ELN6hipcub16HIPCUB_304000_NS18BlockScanAlgorithmE0EEvPKiPi.has_indirect_call, 0
	.section	.AMDGPU.csdata,"",@progbits
; Kernel info:
; codeLenInByte = 760
; TotalNumSgprs: 10
; NumVgprs: 16
; ScratchSize: 0
; MemoryBound: 0
; FloatMode: 240
; IeeeMode: 1
; LDSByteSize: 4224 bytes/workgroup (compile time only)
; SGPRBlocks: 8
; VGPRBlocks: 7
; NumSGPRsForWavesPerEU: 65
; NumVGPRsForWavesPerEU: 29
; Occupancy: 8
; WaveLimiterHint : 1
; COMPUTE_PGM_RSRC2:SCRATCH_EN: 0
; COMPUTE_PGM_RSRC2:USER_SGPR: 6
; COMPUTE_PGM_RSRC2:TRAP_HANDLER: 0
; COMPUTE_PGM_RSRC2:TGID_X_EN: 1
; COMPUTE_PGM_RSRC2:TGID_Y_EN: 0
; COMPUTE_PGM_RSRC2:TGID_Z_EN: 0
; COMPUTE_PGM_RSRC2:TIDIG_COMP_CNT: 0
	.section	.text._Z20BlockPrefixSumKernelILi256ELi4ELN6hipcub16HIPCUB_304000_NS18BlockScanAlgorithmE0EEvPKiPi,"axG",@progbits,_Z20BlockPrefixSumKernelILi256ELi4ELN6hipcub16HIPCUB_304000_NS18BlockScanAlgorithmE0EEvPKiPi,comdat
	.protected	_Z20BlockPrefixSumKernelILi256ELi4ELN6hipcub16HIPCUB_304000_NS18BlockScanAlgorithmE0EEvPKiPi ; -- Begin function _Z20BlockPrefixSumKernelILi256ELi4ELN6hipcub16HIPCUB_304000_NS18BlockScanAlgorithmE0EEvPKiPi
	.globl	_Z20BlockPrefixSumKernelILi256ELi4ELN6hipcub16HIPCUB_304000_NS18BlockScanAlgorithmE0EEvPKiPi
	.p2align	8
	.type	_Z20BlockPrefixSumKernelILi256ELi4ELN6hipcub16HIPCUB_304000_NS18BlockScanAlgorithmE0EEvPKiPi,@function
_Z20BlockPrefixSumKernelILi256ELi4ELN6hipcub16HIPCUB_304000_NS18BlockScanAlgorithmE0EEvPKiPi: ; @_Z20BlockPrefixSumKernelILi256ELi4ELN6hipcub16HIPCUB_304000_NS18BlockScanAlgorithmE0EEvPKiPi
; %bb.0:
	s_load_dwordx4 s[0:3], s[4:5], 0x0
	v_mbcnt_lo_u32_b32 v1, -1, 0
	v_mbcnt_hi_u32_b32 v7, -1, v1
	v_and_b32_e32 v1, 63, v7
	v_lshlrev_b32_e32 v8, 2, v0
	v_lshlrev_b32_e32 v5, 2, v1
	v_and_b32_e32 v3, 0xf00, v8
	s_waitcnt lgkmcnt(0)
	v_mov_b32_e32 v1, s1
	v_add_co_u32_e32 v2, vcc, s0, v5
	v_addc_co_u32_e32 v4, vcc, 0, v1, vcc
	v_lshlrev_b32_e32 v6, 2, v3
	v_add_co_u32_e32 v1, vcc, v2, v6
	v_addc_co_u32_e32 v2, vcc, 0, v4, vcc
	global_load_dword v4, v[1:2], off
	global_load_dword v15, v[1:2], off offset:256
	global_load_dword v16, v[1:2], off offset:512
	;; [unrolled: 1-line block ×3, first 2 shown]
	v_and_b32_e32 v1, 0x3c0, v0
	v_add_u32_e32 v2, v7, v1
	v_min_u32_e32 v1, 0xc0, v1
	v_or_b32_e32 v3, v7, v3
	v_lshlrev_b32_e32 v9, 2, v2
	v_bfe_u32 v2, v2, 3, 27
	v_or_b32_e32 v20, 63, v1
	v_lshrrev_b32_e32 v1, 3, v3
	v_lshlrev_b32_e32 v13, 2, v3
	v_add_u32_e32 v10, 64, v3
	v_or_b32_e32 v11, 0x80, v3
	v_add_u32_e32 v3, 0xc0, v3
	v_add_lshl_u32 v9, v2, v9, 2
	v_and_b32_e32 v1, 0x1ec, v1
	v_lshrrev_b32_e32 v2, 3, v10
	v_lshrrev_b32_e32 v11, 3, v11
	;; [unrolled: 1-line block ×3, first 2 shown]
	v_add_u32_e32 v10, v1, v13
	v_and_b32_e32 v1, 0x1fc, v2
	v_and_b32_e32 v2, 0x1fc, v11
	;; [unrolled: 1-line block ×3, first 2 shown]
	v_add_u32_e32 v11, v1, v13
	v_add_u32_e32 v12, v2, v13
	;; [unrolled: 1-line block ×3, first 2 shown]
	v_and_b32_e32 v18, 15, v7
	v_cmp_ne_u32_e32 vcc, 0, v18
	v_bfe_i32 v19, v7, 4, 1
	v_lshrrev_b32_e32 v14, 6, v0
	s_waitcnt vmcnt(3)
	ds_write_b32 v10, v4
	s_waitcnt vmcnt(2)
	ds_write_b32 v11, v15 offset:256
	s_waitcnt vmcnt(1)
	ds_write_b32 v12, v16 offset:512
	;; [unrolled: 2-line block ×3, first 2 shown]
	; wave barrier
	ds_read2_b32 v[1:2], v9 offset1:1
	ds_read2_b32 v[3:4], v9 offset0:2 offset1:3
	s_waitcnt lgkmcnt(0)
	s_barrier
	v_add_u32_e32 v15, v2, v1
	v_add3_u32 v4, v15, v3, v4
	s_nop 1
	v_mov_b32_dpp v15, v4 row_shr:1 row_mask:0xf bank_mask:0xf
	v_cndmask_b32_e32 v15, 0, v15, vcc
	v_add_u32_e32 v4, v15, v4
	v_cmp_lt_u32_e32 vcc, 1, v18
	s_nop 0
	v_mov_b32_dpp v15, v4 row_shr:2 row_mask:0xf bank_mask:0xf
	v_cndmask_b32_e32 v15, 0, v15, vcc
	v_add_u32_e32 v4, v4, v15
	v_cmp_lt_u32_e32 vcc, 3, v18
	s_nop 0
	v_mov_b32_dpp v15, v4 row_shr:4 row_mask:0xf bank_mask:0xf
	v_cndmask_b32_e32 v15, 0, v15, vcc
	v_add_u32_e32 v4, v4, v15
	v_cmp_lt_u32_e32 vcc, 7, v18
	s_nop 0
	v_mov_b32_dpp v15, v4 row_shr:8 row_mask:0xf bank_mask:0xf
	v_cndmask_b32_e32 v15, 0, v15, vcc
	v_add_u32_e32 v4, v4, v15
	v_cmp_lt_u32_e32 vcc, 31, v7
	s_nop 0
	v_mov_b32_dpp v15, v4 row_bcast:15 row_mask:0xf bank_mask:0xf
	v_and_b32_e32 v15, v19, v15
	v_add_u32_e32 v4, v4, v15
	s_nop 1
	v_mov_b32_dpp v15, v4 row_bcast:31 row_mask:0xf bank_mask:0xf
	v_cndmask_b32_e32 v15, 0, v15, vcc
	v_add_u32_e32 v4, v4, v15
	v_cmp_eq_u32_e32 vcc, v0, v20
	s_and_saveexec_b64 s[0:1], vcc
; %bb.1:
	v_lshlrev_b32_e32 v15, 2, v14
	ds_write_b32 v15, v4
; %bb.2:
	s_or_b64 exec, exec, s[0:1]
	v_cmp_gt_u32_e32 vcc, 4, v0
	s_waitcnt lgkmcnt(0)
	s_barrier
	s_and_saveexec_b64 s[0:1], vcc
	s_cbranch_execz .LBB7_4
; %bb.3:
	ds_read_b32 v15, v8
	v_and_b32_e32 v16, 3, v7
	v_cmp_ne_u32_e32 vcc, 0, v16
	s_waitcnt lgkmcnt(0)
	v_mov_b32_dpp v17, v15 row_shr:1 row_mask:0xf bank_mask:0xf
	v_cndmask_b32_e32 v17, 0, v17, vcc
	v_add_u32_e32 v15, v17, v15
	v_cmp_lt_u32_e32 vcc, 1, v16
	s_nop 0
	v_mov_b32_dpp v17, v15 row_shr:2 row_mask:0xf bank_mask:0xf
	v_cndmask_b32_e32 v16, 0, v17, vcc
	v_add_u32_e32 v15, v15, v16
	ds_write_b32 v8, v15
.LBB7_4:
	s_or_b64 exec, exec, s[0:1]
	v_cmp_lt_u32_e32 vcc, 63, v0
	v_mov_b32_e32 v8, 0
	v_mov_b32_e32 v15, 0
	s_waitcnt lgkmcnt(0)
	s_barrier
	s_and_saveexec_b64 s[0:1], vcc
; %bb.5:
	v_lshl_add_u32 v14, v14, 2, -4
	ds_read_b32 v15, v14
; %bb.6:
	s_or_b64 exec, exec, s[0:1]
	v_subrev_co_u32_e32 v14, vcc, 1, v7
	v_and_b32_e32 v16, 64, v7
	v_cmp_lt_i32_e64 s[0:1], v14, v16
	v_cndmask_b32_e64 v7, v14, v7, s[0:1]
	s_waitcnt lgkmcnt(0)
	v_add_u32_e32 v4, v15, v4
	v_lshlrev_b32_e32 v7, 2, v7
	ds_bpermute_b32 v4, v7, v4
	s_waitcnt lgkmcnt(0)
	v_cndmask_b32_e32 v4, v4, v15, vcc
	v_cmp_eq_u32_e32 vcc, 0, v0
	v_cndmask_b32_e64 v4, v4, 0, vcc
	v_add_u32_e32 v1, v4, v1
	v_add_u32_e32 v2, v1, v2
	;; [unrolled: 1-line block ×3, first 2 shown]
	ds_read_b32 v0, v8 offset:12
	s_waitcnt lgkmcnt(0)
	s_barrier
	ds_write2_b32 v9, v4, v1 offset1:1
	ds_write2_b32 v9, v2, v3 offset0:2 offset1:3
	; wave barrier
	ds_read_b32 v3, v10
	ds_read_b32 v4, v11 offset:256
	ds_read_b32 v7, v12 offset:512
	;; [unrolled: 1-line block ×3, first 2 shown]
	v_mov_b32_e32 v1, s3
	v_add_co_u32_e64 v2, s[0:1], s2, v5
	v_addc_co_u32_e64 v5, s[0:1], 0, v1, s[0:1]
	v_add_co_u32_e64 v1, s[0:1], v2, v6
	v_addc_co_u32_e64 v2, s[0:1], 0, v5, s[0:1]
	s_waitcnt lgkmcnt(3)
	global_store_dword v[1:2], v3, off
	s_waitcnt lgkmcnt(2)
	global_store_dword v[1:2], v4, off offset:256
	s_waitcnt lgkmcnt(1)
	global_store_dword v[1:2], v7, off offset:512
	;; [unrolled: 2-line block ×3, first 2 shown]
	s_and_saveexec_b64 s[0:1], vcc
	s_cbranch_execz .LBB7_8
; %bb.7:
	v_mov_b32_e32 v1, 0x1000
	global_store_dword v1, v0, s[2:3]
.LBB7_8:
	s_endpgm
	.section	.rodata,"a",@progbits
	.p2align	6, 0x0
	.amdhsa_kernel _Z20BlockPrefixSumKernelILi256ELi4ELN6hipcub16HIPCUB_304000_NS18BlockScanAlgorithmE0EEvPKiPi
		.amdhsa_group_segment_fixed_size 4224
		.amdhsa_private_segment_fixed_size 0
		.amdhsa_kernarg_size 16
		.amdhsa_user_sgpr_count 6
		.amdhsa_user_sgpr_private_segment_buffer 1
		.amdhsa_user_sgpr_dispatch_ptr 0
		.amdhsa_user_sgpr_queue_ptr 0
		.amdhsa_user_sgpr_kernarg_segment_ptr 1
		.amdhsa_user_sgpr_dispatch_id 0
		.amdhsa_user_sgpr_flat_scratch_init 0
		.amdhsa_user_sgpr_private_segment_size 0
		.amdhsa_uses_dynamic_stack 0
		.amdhsa_system_sgpr_private_segment_wavefront_offset 0
		.amdhsa_system_sgpr_workgroup_id_x 1
		.amdhsa_system_sgpr_workgroup_id_y 0
		.amdhsa_system_sgpr_workgroup_id_z 0
		.amdhsa_system_sgpr_workgroup_info 0
		.amdhsa_system_vgpr_workitem_id 0
		.amdhsa_next_free_vgpr 29
		.amdhsa_next_free_sgpr 61
		.amdhsa_reserve_vcc 1
		.amdhsa_reserve_flat_scratch 0
		.amdhsa_float_round_mode_32 0
		.amdhsa_float_round_mode_16_64 0
		.amdhsa_float_denorm_mode_32 3
		.amdhsa_float_denorm_mode_16_64 3
		.amdhsa_dx10_clamp 1
		.amdhsa_ieee_mode 1
		.amdhsa_fp16_overflow 0
		.amdhsa_exception_fp_ieee_invalid_op 0
		.amdhsa_exception_fp_denorm_src 0
		.amdhsa_exception_fp_ieee_div_zero 0
		.amdhsa_exception_fp_ieee_overflow 0
		.amdhsa_exception_fp_ieee_underflow 0
		.amdhsa_exception_fp_ieee_inexact 0
		.amdhsa_exception_int_div_zero 0
	.end_amdhsa_kernel
	.section	.text._Z20BlockPrefixSumKernelILi256ELi4ELN6hipcub16HIPCUB_304000_NS18BlockScanAlgorithmE0EEvPKiPi,"axG",@progbits,_Z20BlockPrefixSumKernelILi256ELi4ELN6hipcub16HIPCUB_304000_NS18BlockScanAlgorithmE0EEvPKiPi,comdat
.Lfunc_end7:
	.size	_Z20BlockPrefixSumKernelILi256ELi4ELN6hipcub16HIPCUB_304000_NS18BlockScanAlgorithmE0EEvPKiPi, .Lfunc_end7-_Z20BlockPrefixSumKernelILi256ELi4ELN6hipcub16HIPCUB_304000_NS18BlockScanAlgorithmE0EEvPKiPi
                                        ; -- End function
	.set _Z20BlockPrefixSumKernelILi256ELi4ELN6hipcub16HIPCUB_304000_NS18BlockScanAlgorithmE0EEvPKiPi.num_vgpr, 21
	.set _Z20BlockPrefixSumKernelILi256ELi4ELN6hipcub16HIPCUB_304000_NS18BlockScanAlgorithmE0EEvPKiPi.num_agpr, 0
	.set _Z20BlockPrefixSumKernelILi256ELi4ELN6hipcub16HIPCUB_304000_NS18BlockScanAlgorithmE0EEvPKiPi.numbered_sgpr, 6
	.set _Z20BlockPrefixSumKernelILi256ELi4ELN6hipcub16HIPCUB_304000_NS18BlockScanAlgorithmE0EEvPKiPi.num_named_barrier, 0
	.set _Z20BlockPrefixSumKernelILi256ELi4ELN6hipcub16HIPCUB_304000_NS18BlockScanAlgorithmE0EEvPKiPi.private_seg_size, 0
	.set _Z20BlockPrefixSumKernelILi256ELi4ELN6hipcub16HIPCUB_304000_NS18BlockScanAlgorithmE0EEvPKiPi.uses_vcc, 1
	.set _Z20BlockPrefixSumKernelILi256ELi4ELN6hipcub16HIPCUB_304000_NS18BlockScanAlgorithmE0EEvPKiPi.uses_flat_scratch, 0
	.set _Z20BlockPrefixSumKernelILi256ELi4ELN6hipcub16HIPCUB_304000_NS18BlockScanAlgorithmE0EEvPKiPi.has_dyn_sized_stack, 0
	.set _Z20BlockPrefixSumKernelILi256ELi4ELN6hipcub16HIPCUB_304000_NS18BlockScanAlgorithmE0EEvPKiPi.has_recursion, 0
	.set _Z20BlockPrefixSumKernelILi256ELi4ELN6hipcub16HIPCUB_304000_NS18BlockScanAlgorithmE0EEvPKiPi.has_indirect_call, 0
	.section	.AMDGPU.csdata,"",@progbits
; Kernel info:
; codeLenInByte = 892
; TotalNumSgprs: 10
; NumVgprs: 21
; ScratchSize: 0
; MemoryBound: 0
; FloatMode: 240
; IeeeMode: 1
; LDSByteSize: 4224 bytes/workgroup (compile time only)
; SGPRBlocks: 8
; VGPRBlocks: 7
; NumSGPRsForWavesPerEU: 65
; NumVGPRsForWavesPerEU: 29
; Occupancy: 8
; WaveLimiterHint : 1
; COMPUTE_PGM_RSRC2:SCRATCH_EN: 0
; COMPUTE_PGM_RSRC2:USER_SGPR: 6
; COMPUTE_PGM_RSRC2:TRAP_HANDLER: 0
; COMPUTE_PGM_RSRC2:TGID_X_EN: 1
; COMPUTE_PGM_RSRC2:TGID_Y_EN: 0
; COMPUTE_PGM_RSRC2:TGID_Z_EN: 0
; COMPUTE_PGM_RSRC2:TIDIG_COMP_CNT: 0
	.section	.text._Z20BlockPrefixSumKernelILi128ELi8ELN6hipcub16HIPCUB_304000_NS18BlockScanAlgorithmE0EEvPKiPi,"axG",@progbits,_Z20BlockPrefixSumKernelILi128ELi8ELN6hipcub16HIPCUB_304000_NS18BlockScanAlgorithmE0EEvPKiPi,comdat
	.protected	_Z20BlockPrefixSumKernelILi128ELi8ELN6hipcub16HIPCUB_304000_NS18BlockScanAlgorithmE0EEvPKiPi ; -- Begin function _Z20BlockPrefixSumKernelILi128ELi8ELN6hipcub16HIPCUB_304000_NS18BlockScanAlgorithmE0EEvPKiPi
	.globl	_Z20BlockPrefixSumKernelILi128ELi8ELN6hipcub16HIPCUB_304000_NS18BlockScanAlgorithmE0EEvPKiPi
	.p2align	8
	.type	_Z20BlockPrefixSumKernelILi128ELi8ELN6hipcub16HIPCUB_304000_NS18BlockScanAlgorithmE0EEvPKiPi,@function
_Z20BlockPrefixSumKernelILi128ELi8ELN6hipcub16HIPCUB_304000_NS18BlockScanAlgorithmE0EEvPKiPi: ; @_Z20BlockPrefixSumKernelILi128ELi8ELN6hipcub16HIPCUB_304000_NS18BlockScanAlgorithmE0EEvPKiPi
; %bb.0:
	s_load_dwordx4 s[0:3], s[4:5], 0x0
	v_mbcnt_lo_u32_b32 v1, -1, 0
	v_mbcnt_hi_u32_b32 v11, -1, v1
	v_and_b32_e32 v1, 63, v11
	v_lshlrev_b32_e32 v2, 3, v0
	v_lshlrev_b32_e32 v9, 2, v1
	v_and_b32_e32 v14, 0x1e00, v2
	s_waitcnt lgkmcnt(0)
	v_mov_b32_e32 v1, s1
	v_add_co_u32_e32 v2, vcc, s0, v9
	v_addc_co_u32_e32 v1, vcc, 0, v1, vcc
	v_lshlrev_b32_e32 v10, 2, v14
	v_add_co_u32_e32 v12, vcc, v2, v10
	v_addc_co_u32_e32 v13, vcc, 0, v1, vcc
	global_load_dword v1, v[12:13], off
	global_load_dword v2, v[12:13], off offset:256
	global_load_dword v3, v[12:13], off offset:512
	global_load_dword v4, v[12:13], off offset:768
	global_load_dword v5, v[12:13], off offset:1024
	global_load_dword v6, v[12:13], off offset:1280
	global_load_dword v7, v[12:13], off offset:1536
	global_load_dword v8, v[12:13], off offset:1792
	v_and_b32_e32 v12, 0x3c0, v0
	v_add_u32_e32 v13, v11, v12
	v_or_b32_e32 v14, v11, v14
	v_min_u32_e32 v12, 64, v12
	v_lshlrev_b32_e32 v15, 3, v13
	v_bfe_u32 v13, v13, 2, 27
	v_lshrrev_b32_e32 v16, 3, v14
	v_lshlrev_b32_e32 v20, 2, v14
	v_add_u32_e32 v17, 64, v14
	v_or_b32_e32 v18, 0x80, v14
	v_add_u32_e32 v19, 0xc0, v14
	v_or_b32_e32 v25, 0x100, v14
	v_add_u32_e32 v26, 0x140, v14
	v_or_b32_e32 v27, 0x180, v14
	v_add_u32_e32 v14, 0x1c0, v14
	v_or_b32_e32 v24, 63, v12
	v_add_lshl_u32 v12, v13, v15, 2
	v_and_b32_e32 v13, 0x3cc, v16
	v_lshrrev_b32_e32 v15, 3, v17
	v_lshrrev_b32_e32 v16, 3, v18
	v_lshrrev_b32_e32 v17, 3, v19
	v_lshrrev_b32_e32 v18, 3, v25
	v_lshrrev_b32_e32 v19, 3, v26
	v_lshrrev_b32_e32 v25, 3, v27
	v_lshrrev_b32_e32 v14, 3, v14
	v_add_u32_e32 v13, v13, v20
	v_and_b32_e32 v15, 0x3dc, v15
	v_and_b32_e32 v16, 0x3dc, v16
	;; [unrolled: 1-line block ×7, first 2 shown]
	v_add_u32_e32 v14, v15, v20
	v_add_u32_e32 v15, v16, v20
	;; [unrolled: 1-line block ×7, first 2 shown]
	v_and_b32_e32 v22, 15, v11
	v_cmp_ne_u32_e32 vcc, 0, v22
	v_bfe_i32 v23, v11, 4, 1
	v_lshrrev_b32_e32 v21, 6, v0
	s_waitcnt vmcnt(7)
	ds_write_b32 v13, v1
	s_waitcnt vmcnt(6)
	ds_write_b32 v14, v2 offset:256
	s_waitcnt vmcnt(5)
	ds_write_b32 v15, v3 offset:512
	;; [unrolled: 2-line block ×7, first 2 shown]
	; wave barrier
	ds_read2_b32 v[7:8], v12 offset1:1
	ds_read2_b32 v[5:6], v12 offset0:2 offset1:3
	ds_read2_b32 v[1:2], v12 offset0:4 offset1:5
	;; [unrolled: 1-line block ×3, first 2 shown]
	s_waitcnt lgkmcnt(0)
	v_add_u32_e32 v25, v8, v7
	v_add3_u32 v25, v25, v5, v6
	v_add3_u32 v25, v25, v1, v2
	;; [unrolled: 1-line block ×3, first 2 shown]
	s_barrier
	s_nop 0
	v_mov_b32_dpp v25, v4 row_shr:1 row_mask:0xf bank_mask:0xf
	v_cndmask_b32_e32 v25, 0, v25, vcc
	v_add_u32_e32 v4, v25, v4
	v_cmp_lt_u32_e32 vcc, 1, v22
	s_nop 0
	v_mov_b32_dpp v25, v4 row_shr:2 row_mask:0xf bank_mask:0xf
	v_cndmask_b32_e32 v25, 0, v25, vcc
	v_add_u32_e32 v4, v4, v25
	v_cmp_lt_u32_e32 vcc, 3, v22
	;; [unrolled: 5-line block ×4, first 2 shown]
	s_nop 0
	v_mov_b32_dpp v22, v4 row_bcast:15 row_mask:0xf bank_mask:0xf
	v_and_b32_e32 v22, v23, v22
	v_add_u32_e32 v4, v4, v22
	s_nop 1
	v_mov_b32_dpp v22, v4 row_bcast:31 row_mask:0xf bank_mask:0xf
	v_cndmask_b32_e32 v22, 0, v22, vcc
	v_add_u32_e32 v4, v4, v22
	v_cmp_eq_u32_e32 vcc, v0, v24
	s_and_saveexec_b64 s[0:1], vcc
; %bb.1:
	v_lshlrev_b32_e32 v22, 2, v21
	ds_write_b32 v22, v4
; %bb.2:
	s_or_b64 exec, exec, s[0:1]
	v_cmp_gt_u32_e32 vcc, 2, v0
	s_waitcnt lgkmcnt(0)
	s_barrier
	s_and_saveexec_b64 s[0:1], vcc
	s_cbranch_execz .LBB8_4
; %bb.3:
	v_lshlrev_b32_e32 v22, 2, v0
	ds_read_b32 v23, v22
	v_bfe_i32 v24, v11, 0, 1
	s_waitcnt lgkmcnt(0)
	v_mov_b32_dpp v25, v23 row_shr:1 row_mask:0xf bank_mask:0xf
	v_and_b32_e32 v24, v24, v25
	v_add_u32_e32 v23, v24, v23
	ds_write_b32 v22, v23
.LBB8_4:
	s_or_b64 exec, exec, s[0:1]
	v_cmp_lt_u32_e32 vcc, 63, v0
	v_mov_b32_e32 v22, 0
	v_mov_b32_e32 v23, 0
	s_waitcnt lgkmcnt(0)
	s_barrier
	s_and_saveexec_b64 s[0:1], vcc
; %bb.5:
	v_lshl_add_u32 v21, v21, 2, -4
	ds_read_b32 v23, v21
; %bb.6:
	s_or_b64 exec, exec, s[0:1]
	v_subrev_co_u32_e32 v21, vcc, 1, v11
	v_and_b32_e32 v24, 64, v11
	v_cmp_lt_i32_e64 s[0:1], v21, v24
	v_cndmask_b32_e64 v11, v21, v11, s[0:1]
	s_waitcnt lgkmcnt(0)
	v_add_u32_e32 v4, v23, v4
	v_lshlrev_b32_e32 v11, 2, v11
	ds_bpermute_b32 v4, v11, v4
	s_waitcnt lgkmcnt(0)
	v_cndmask_b32_e32 v4, v4, v23, vcc
	v_cmp_eq_u32_e32 vcc, 0, v0
	v_cndmask_b32_e64 v4, v4, 0, vcc
	v_add_u32_e32 v7, v4, v7
	v_add_u32_e32 v8, v7, v8
	;; [unrolled: 1-line block ×7, first 2 shown]
	ds_read_b32 v0, v22 offset:4
	s_waitcnt lgkmcnt(0)
	s_barrier
	ds_write2_b32 v12, v4, v7 offset1:1
	ds_write2_b32 v12, v8, v5 offset0:2 offset1:3
	ds_write2_b32 v12, v6, v1 offset0:4 offset1:5
	;; [unrolled: 1-line block ×3, first 2 shown]
	; wave barrier
	ds_read_b32 v3, v13
	ds_read_b32 v4, v14 offset:256
	ds_read_b32 v5, v15 offset:512
	;; [unrolled: 1-line block ×7, first 2 shown]
	v_mov_b32_e32 v1, s3
	v_add_co_u32_e64 v2, s[0:1], s2, v9
	v_addc_co_u32_e64 v9, s[0:1], 0, v1, s[0:1]
	v_add_co_u32_e64 v1, s[0:1], v2, v10
	v_addc_co_u32_e64 v2, s[0:1], 0, v9, s[0:1]
	s_waitcnt lgkmcnt(7)
	global_store_dword v[1:2], v3, off
	s_waitcnt lgkmcnt(6)
	global_store_dword v[1:2], v4, off offset:256
	s_waitcnt lgkmcnt(5)
	global_store_dword v[1:2], v5, off offset:512
	;; [unrolled: 2-line block ×7, first 2 shown]
	s_and_saveexec_b64 s[0:1], vcc
	s_cbranch_execz .LBB8_8
; %bb.7:
	v_mov_b32_e32 v1, 0x1000
	global_store_dword v1, v0, s[2:3]
.LBB8_8:
	s_endpgm
	.section	.rodata,"a",@progbits
	.p2align	6, 0x0
	.amdhsa_kernel _Z20BlockPrefixSumKernelILi128ELi8ELN6hipcub16HIPCUB_304000_NS18BlockScanAlgorithmE0EEvPKiPi
		.amdhsa_group_segment_fixed_size 4224
		.amdhsa_private_segment_fixed_size 0
		.amdhsa_kernarg_size 16
		.amdhsa_user_sgpr_count 6
		.amdhsa_user_sgpr_private_segment_buffer 1
		.amdhsa_user_sgpr_dispatch_ptr 0
		.amdhsa_user_sgpr_queue_ptr 0
		.amdhsa_user_sgpr_kernarg_segment_ptr 1
		.amdhsa_user_sgpr_dispatch_id 0
		.amdhsa_user_sgpr_flat_scratch_init 0
		.amdhsa_user_sgpr_private_segment_size 0
		.amdhsa_uses_dynamic_stack 0
		.amdhsa_system_sgpr_private_segment_wavefront_offset 0
		.amdhsa_system_sgpr_workgroup_id_x 1
		.amdhsa_system_sgpr_workgroup_id_y 0
		.amdhsa_system_sgpr_workgroup_id_z 0
		.amdhsa_system_sgpr_workgroup_info 0
		.amdhsa_system_vgpr_workitem_id 0
		.amdhsa_next_free_vgpr 29
		.amdhsa_next_free_sgpr 61
		.amdhsa_reserve_vcc 1
		.amdhsa_reserve_flat_scratch 0
		.amdhsa_float_round_mode_32 0
		.amdhsa_float_round_mode_16_64 0
		.amdhsa_float_denorm_mode_32 3
		.amdhsa_float_denorm_mode_16_64 3
		.amdhsa_dx10_clamp 1
		.amdhsa_ieee_mode 1
		.amdhsa_fp16_overflow 0
		.amdhsa_exception_fp_ieee_invalid_op 0
		.amdhsa_exception_fp_denorm_src 0
		.amdhsa_exception_fp_ieee_div_zero 0
		.amdhsa_exception_fp_ieee_overflow 0
		.amdhsa_exception_fp_ieee_underflow 0
		.amdhsa_exception_fp_ieee_inexact 0
		.amdhsa_exception_int_div_zero 0
	.end_amdhsa_kernel
	.section	.text._Z20BlockPrefixSumKernelILi128ELi8ELN6hipcub16HIPCUB_304000_NS18BlockScanAlgorithmE0EEvPKiPi,"axG",@progbits,_Z20BlockPrefixSumKernelILi128ELi8ELN6hipcub16HIPCUB_304000_NS18BlockScanAlgorithmE0EEvPKiPi,comdat
.Lfunc_end8:
	.size	_Z20BlockPrefixSumKernelILi128ELi8ELN6hipcub16HIPCUB_304000_NS18BlockScanAlgorithmE0EEvPKiPi, .Lfunc_end8-_Z20BlockPrefixSumKernelILi128ELi8ELN6hipcub16HIPCUB_304000_NS18BlockScanAlgorithmE0EEvPKiPi
                                        ; -- End function
	.set _Z20BlockPrefixSumKernelILi128ELi8ELN6hipcub16HIPCUB_304000_NS18BlockScanAlgorithmE0EEvPKiPi.num_vgpr, 28
	.set _Z20BlockPrefixSumKernelILi128ELi8ELN6hipcub16HIPCUB_304000_NS18BlockScanAlgorithmE0EEvPKiPi.num_agpr, 0
	.set _Z20BlockPrefixSumKernelILi128ELi8ELN6hipcub16HIPCUB_304000_NS18BlockScanAlgorithmE0EEvPKiPi.numbered_sgpr, 6
	.set _Z20BlockPrefixSumKernelILi128ELi8ELN6hipcub16HIPCUB_304000_NS18BlockScanAlgorithmE0EEvPKiPi.num_named_barrier, 0
	.set _Z20BlockPrefixSumKernelILi128ELi8ELN6hipcub16HIPCUB_304000_NS18BlockScanAlgorithmE0EEvPKiPi.private_seg_size, 0
	.set _Z20BlockPrefixSumKernelILi128ELi8ELN6hipcub16HIPCUB_304000_NS18BlockScanAlgorithmE0EEvPKiPi.uses_vcc, 1
	.set _Z20BlockPrefixSumKernelILi128ELi8ELN6hipcub16HIPCUB_304000_NS18BlockScanAlgorithmE0EEvPKiPi.uses_flat_scratch, 0
	.set _Z20BlockPrefixSumKernelILi128ELi8ELN6hipcub16HIPCUB_304000_NS18BlockScanAlgorithmE0EEvPKiPi.has_dyn_sized_stack, 0
	.set _Z20BlockPrefixSumKernelILi128ELi8ELN6hipcub16HIPCUB_304000_NS18BlockScanAlgorithmE0EEvPKiPi.has_recursion, 0
	.set _Z20BlockPrefixSumKernelILi128ELi8ELN6hipcub16HIPCUB_304000_NS18BlockScanAlgorithmE0EEvPKiPi.has_indirect_call, 0
	.section	.AMDGPU.csdata,"",@progbits
; Kernel info:
; codeLenInByte = 1188
; TotalNumSgprs: 10
; NumVgprs: 28
; ScratchSize: 0
; MemoryBound: 0
; FloatMode: 240
; IeeeMode: 1
; LDSByteSize: 4224 bytes/workgroup (compile time only)
; SGPRBlocks: 8
; VGPRBlocks: 7
; NumSGPRsForWavesPerEU: 65
; NumVGPRsForWavesPerEU: 29
; Occupancy: 8
; WaveLimiterHint : 1
; COMPUTE_PGM_RSRC2:SCRATCH_EN: 0
; COMPUTE_PGM_RSRC2:USER_SGPR: 6
; COMPUTE_PGM_RSRC2:TRAP_HANDLER: 0
; COMPUTE_PGM_RSRC2:TGID_X_EN: 1
; COMPUTE_PGM_RSRC2:TGID_Y_EN: 0
; COMPUTE_PGM_RSRC2:TGID_Z_EN: 0
; COMPUTE_PGM_RSRC2:TIDIG_COMP_CNT: 0
	.section	.text._Z20BlockPrefixSumKernelILi64ELi16ELN6hipcub16HIPCUB_304000_NS18BlockScanAlgorithmE0EEvPKiPi,"axG",@progbits,_Z20BlockPrefixSumKernelILi64ELi16ELN6hipcub16HIPCUB_304000_NS18BlockScanAlgorithmE0EEvPKiPi,comdat
	.protected	_Z20BlockPrefixSumKernelILi64ELi16ELN6hipcub16HIPCUB_304000_NS18BlockScanAlgorithmE0EEvPKiPi ; -- Begin function _Z20BlockPrefixSumKernelILi64ELi16ELN6hipcub16HIPCUB_304000_NS18BlockScanAlgorithmE0EEvPKiPi
	.globl	_Z20BlockPrefixSumKernelILi64ELi16ELN6hipcub16HIPCUB_304000_NS18BlockScanAlgorithmE0EEvPKiPi
	.p2align	8
	.type	_Z20BlockPrefixSumKernelILi64ELi16ELN6hipcub16HIPCUB_304000_NS18BlockScanAlgorithmE0EEvPKiPi,@function
_Z20BlockPrefixSumKernelILi64ELi16ELN6hipcub16HIPCUB_304000_NS18BlockScanAlgorithmE0EEvPKiPi: ; @_Z20BlockPrefixSumKernelILi64ELi16ELN6hipcub16HIPCUB_304000_NS18BlockScanAlgorithmE0EEvPKiPi
; %bb.0:
	s_load_dwordx4 s[0:3], s[4:5], 0x0
	v_mbcnt_lo_u32_b32 v1, -1, 0
	v_mbcnt_hi_u32_b32 v19, -1, v1
	v_and_b32_e32 v1, 63, v19
	v_lshlrev_b32_e32 v2, 4, v0
	v_lshlrev_b32_e32 v17, 2, v1
	v_and_b32_e32 v3, 0x3c00, v2
	s_waitcnt lgkmcnt(0)
	v_mov_b32_e32 v1, s1
	v_add_co_u32_e32 v2, vcc, s0, v17
	v_addc_co_u32_e32 v1, vcc, 0, v1, vcc
	v_lshlrev_b32_e32 v18, 2, v3
	v_add_co_u32_e32 v20, vcc, v2, v18
	v_addc_co_u32_e32 v21, vcc, 0, v1, vcc
	global_load_dword v8, v[20:21], off
	global_load_dword v9, v[20:21], off offset:256
	global_load_dword v10, v[20:21], off offset:512
	;; [unrolled: 1-line block ×15, first 2 shown]
	v_or_b32_e32 v3, v19, v3
	v_lshrrev_b32_e32 v20, 3, v3
	v_add_u32_e32 v21, 64, v3
	v_or_b32_e32 v22, 0x80, v3
	v_add_u32_e32 v23, 0xc0, v3
	v_or_b32_e32 v24, 0x100, v3
	v_add_u32_e32 v25, 0x140, v3
	v_or_b32_e32 v26, 0x180, v3
	v_add_u32_e32 v27, 0x1c0, v3
	v_or_b32_e32 v28, 0x200, v3
	v_add_u32_e32 v29, 0x240, v3
	v_or_b32_e32 v30, 0x280, v3
	v_lshlrev_b32_e32 v4, 2, v3
	v_and_b32_e32 v20, 0x78c, v20
	v_lshrrev_b32_e32 v21, 3, v21
	v_lshrrev_b32_e32 v22, 3, v22
	;; [unrolled: 1-line block ×10, first 2 shown]
	v_add_u32_e32 v20, v20, v4
	v_and_b32_e32 v21, 0x79c, v21
	v_and_b32_e32 v22, 0x79c, v22
	;; [unrolled: 1-line block ×10, first 2 shown]
	v_add_u32_e32 v21, v21, v4
	v_add_u32_e32 v22, v22, v4
	;; [unrolled: 1-line block ×10, first 2 shown]
	s_waitcnt vmcnt(15)
	ds_write_b32 v20, v8
	s_waitcnt vmcnt(14)
	ds_write_b32 v21, v9 offset:256
	s_waitcnt vmcnt(13)
	ds_write_b32 v22, v10 offset:512
	s_waitcnt vmcnt(12)
	ds_write_b32 v23, v11 offset:768
	s_waitcnt vmcnt(11)
	ds_write_b32 v24, v12 offset:1024
	s_waitcnt vmcnt(10)
	ds_write_b32 v25, v13 offset:1280
	s_waitcnt vmcnt(9)
	ds_write_b32 v26, v14 offset:1536
	s_waitcnt vmcnt(8)
	ds_write_b32 v27, v15 offset:1792
	s_waitcnt vmcnt(7)
	ds_write_b32 v28, v16 offset:2048
	s_waitcnt vmcnt(6)
	ds_write_b32 v29, v31 offset:2304
	s_waitcnt vmcnt(5)
	ds_write_b32 v30, v32 offset:2560
	v_add_u32_e32 v8, 0x2c0, v3
	v_lshrrev_b32_e32 v8, 3, v8
	v_and_b32_e32 v8, 0x7fc, v8
	v_add_u32_e32 v31, v8, v4
	s_waitcnt vmcnt(4)
	ds_write_b32 v31, v7 offset:2816
	v_or_b32_e32 v7, 0x300, v3
	v_lshrrev_b32_e32 v7, 3, v7
	v_and_b32_e32 v7, 0x7ec, v7
	v_add_u32_e32 v32, v7, v4
	s_waitcnt vmcnt(3)
	ds_write_b32 v32, v6 offset:3072
	v_add_u32_e32 v6, 0x340, v3
	v_lshrrev_b32_e32 v6, 3, v6
	v_and_b32_e32 v6, 0x7fc, v6
	v_add_u32_e32 v33, v6, v4
	s_waitcnt vmcnt(2)
	ds_write_b32 v33, v5 offset:3328
	v_or_b32_e32 v5, 0x380, v3
	v_lshrrev_b32_e32 v5, 3, v5
	v_and_b32_e32 v5, 0x7fc, v5
	v_add_u32_e32 v34, v5, v4
	s_waitcnt vmcnt(1)
	ds_write_b32 v34, v2 offset:3584
	v_add_u32_e32 v2, 0x3c0, v3
	v_lshrrev_b32_e32 v2, 3, v2
	v_and_b32_e32 v2, 0xffc, v2
	v_add_u32_e32 v35, v2, v4
	s_waitcnt vmcnt(0)
	ds_write_b32 v35, v1 offset:3840
	v_and_b32_e32 v1, 0x3c0, v0
	v_add_u32_e32 v1, v19, v1
	v_lshlrev_b32_e32 v2, 4, v1
	v_bfe_u32 v1, v1, 1, 27
	v_add_lshl_u32 v36, v1, v2, 2
	; wave barrier
	ds_read2_b32 v[3:4], v36 offset1:1
	ds_read2_b32 v[1:2], v36 offset0:2 offset1:3
	ds_read2_b32 v[5:6], v36 offset0:4 offset1:5
	;; [unrolled: 1-line block ×3, first 2 shown]
	s_waitcnt lgkmcnt(3)
	v_add_u32_e32 v9, v4, v3
	s_waitcnt lgkmcnt(2)
	v_add3_u32 v9, v9, v1, v2
	s_waitcnt lgkmcnt(1)
	v_add3_u32 v9, v9, v5, v6
	;; [unrolled: 2-line block ×3, first 2 shown]
	ds_read2_b32 v[9:10], v36 offset0:8 offset1:9
	ds_read2_b32 v[11:12], v36 offset0:10 offset1:11
	;; [unrolled: 1-line block ×4, first 2 shown]
	s_waitcnt lgkmcnt(0)
	v_add3_u32 v37, v37, v9, v10
	v_add3_u32 v37, v37, v11, v12
	;; [unrolled: 1-line block ×4, first 2 shown]
	v_and_b32_e32 v37, 15, v19
	v_cmp_ne_u32_e32 vcc, 0, v37
	v_mov_b32_dpp v38, v16 row_shr:1 row_mask:0xf bank_mask:0xf
	v_cndmask_b32_e32 v38, 0, v38, vcc
	v_add_u32_e32 v16, v38, v16
	v_cmp_lt_u32_e32 vcc, 1, v37
	s_barrier
	v_mov_b32_dpp v38, v16 row_shr:2 row_mask:0xf bank_mask:0xf
	v_cndmask_b32_e32 v38, 0, v38, vcc
	v_add_u32_e32 v16, v16, v38
	v_cmp_lt_u32_e32 vcc, 3, v37
	s_nop 0
	v_mov_b32_dpp v38, v16 row_shr:4 row_mask:0xf bank_mask:0xf
	v_cndmask_b32_e32 v38, 0, v38, vcc
	v_add_u32_e32 v16, v16, v38
	v_cmp_lt_u32_e32 vcc, 7, v37
	s_nop 0
	v_mov_b32_dpp v38, v16 row_shr:8 row_mask:0xf bank_mask:0xf
	v_cndmask_b32_e32 v37, 0, v38, vcc
	v_add_u32_e32 v16, v16, v37
	v_bfe_i32 v38, v19, 4, 1
	v_cmp_lt_u32_e32 vcc, 31, v19
	v_mov_b32_dpp v37, v16 row_bcast:15 row_mask:0xf bank_mask:0xf
	v_and_b32_e32 v37, v38, v37
	v_add_u32_e32 v16, v16, v37
	s_nop 1
	v_mov_b32_dpp v37, v16 row_bcast:31 row_mask:0xf bank_mask:0xf
	v_cndmask_b32_e32 v37, 0, v37, vcc
	v_add_u32_e32 v37, v16, v37
	v_cmp_eq_u32_e32 vcc, 63, v0
	v_mov_b32_e32 v16, 0
	s_and_saveexec_b64 s[0:1], vcc
; %bb.1:
	ds_write_b32 v16, v37
; %bb.2:
	s_or_b64 exec, exec, s[0:1]
	v_subrev_co_u32_e32 v38, vcc, 1, v19
	v_and_b32_e32 v39, 64, v19
	v_cmp_lt_i32_e64 s[0:1], v38, v39
	v_cndmask_b32_e64 v19, v38, v19, s[0:1]
	v_lshlrev_b32_e32 v19, 2, v19
	ds_bpermute_b32 v19, v19, v37
	v_cmp_eq_u32_e64 s[0:1], 0, v0
	s_or_b64 s[4:5], s[0:1], vcc
	s_waitcnt lgkmcnt(0)
	s_barrier
	v_cndmask_b32_e64 v19, v19, 0, s[4:5]
	v_add_u32_e32 v3, v19, v3
	v_add_u32_e32 v4, v3, v4
	;; [unrolled: 1-line block ×15, first 2 shown]
	ds_read_b32 v0, v16
	s_waitcnt lgkmcnt(0)
	s_barrier
	ds_write2_b32 v36, v19, v3 offset1:1
	ds_write2_b32 v36, v4, v1 offset0:2 offset1:3
	ds_write2_b32 v36, v2, v5 offset0:4 offset1:5
	;; [unrolled: 1-line block ×7, first 2 shown]
	; wave barrier
	ds_read_b32 v3, v20
	ds_read_b32 v4, v21 offset:256
	ds_read_b32 v5, v22 offset:512
	;; [unrolled: 1-line block ×15, first 2 shown]
	v_mov_b32_e32 v1, s3
	v_add_co_u32_e32 v2, vcc, s2, v17
	v_addc_co_u32_e32 v17, vcc, 0, v1, vcc
	v_add_co_u32_e32 v1, vcc, v2, v18
	v_addc_co_u32_e32 v2, vcc, 0, v17, vcc
	s_waitcnt lgkmcnt(14)
	global_store_dword v[1:2], v3, off
	global_store_dword v[1:2], v4, off offset:256
	s_waitcnt lgkmcnt(13)
	global_store_dword v[1:2], v5, off offset:512
	s_waitcnt lgkmcnt(12)
	;; [unrolled: 2-line block ×14, first 2 shown]
	global_store_dword v[1:2], v20, off offset:3840
	s_and_saveexec_b64 s[4:5], s[0:1]
	s_cbranch_execz .LBB9_4
; %bb.3:
	v_mov_b32_e32 v1, 0x1000
	global_store_dword v1, v0, s[2:3]
.LBB9_4:
	s_endpgm
	.section	.rodata,"a",@progbits
	.p2align	6, 0x0
	.amdhsa_kernel _Z20BlockPrefixSumKernelILi64ELi16ELN6hipcub16HIPCUB_304000_NS18BlockScanAlgorithmE0EEvPKiPi
		.amdhsa_group_segment_fixed_size 4224
		.amdhsa_private_segment_fixed_size 0
		.amdhsa_kernarg_size 16
		.amdhsa_user_sgpr_count 6
		.amdhsa_user_sgpr_private_segment_buffer 1
		.amdhsa_user_sgpr_dispatch_ptr 0
		.amdhsa_user_sgpr_queue_ptr 0
		.amdhsa_user_sgpr_kernarg_segment_ptr 1
		.amdhsa_user_sgpr_dispatch_id 0
		.amdhsa_user_sgpr_flat_scratch_init 0
		.amdhsa_user_sgpr_private_segment_size 0
		.amdhsa_uses_dynamic_stack 0
		.amdhsa_system_sgpr_private_segment_wavefront_offset 0
		.amdhsa_system_sgpr_workgroup_id_x 1
		.amdhsa_system_sgpr_workgroup_id_y 0
		.amdhsa_system_sgpr_workgroup_id_z 0
		.amdhsa_system_sgpr_workgroup_info 0
		.amdhsa_system_vgpr_workitem_id 0
		.amdhsa_next_free_vgpr 40
		.amdhsa_next_free_sgpr 61
		.amdhsa_reserve_vcc 1
		.amdhsa_reserve_flat_scratch 0
		.amdhsa_float_round_mode_32 0
		.amdhsa_float_round_mode_16_64 0
		.amdhsa_float_denorm_mode_32 3
		.amdhsa_float_denorm_mode_16_64 3
		.amdhsa_dx10_clamp 1
		.amdhsa_ieee_mode 1
		.amdhsa_fp16_overflow 0
		.amdhsa_exception_fp_ieee_invalid_op 0
		.amdhsa_exception_fp_denorm_src 0
		.amdhsa_exception_fp_ieee_div_zero 0
		.amdhsa_exception_fp_ieee_overflow 0
		.amdhsa_exception_fp_ieee_underflow 0
		.amdhsa_exception_fp_ieee_inexact 0
		.amdhsa_exception_int_div_zero 0
	.end_amdhsa_kernel
	.section	.text._Z20BlockPrefixSumKernelILi64ELi16ELN6hipcub16HIPCUB_304000_NS18BlockScanAlgorithmE0EEvPKiPi,"axG",@progbits,_Z20BlockPrefixSumKernelILi64ELi16ELN6hipcub16HIPCUB_304000_NS18BlockScanAlgorithmE0EEvPKiPi,comdat
.Lfunc_end9:
	.size	_Z20BlockPrefixSumKernelILi64ELi16ELN6hipcub16HIPCUB_304000_NS18BlockScanAlgorithmE0EEvPKiPi, .Lfunc_end9-_Z20BlockPrefixSumKernelILi64ELi16ELN6hipcub16HIPCUB_304000_NS18BlockScanAlgorithmE0EEvPKiPi
                                        ; -- End function
	.set _Z20BlockPrefixSumKernelILi64ELi16ELN6hipcub16HIPCUB_304000_NS18BlockScanAlgorithmE0EEvPKiPi.num_vgpr, 40
	.set _Z20BlockPrefixSumKernelILi64ELi16ELN6hipcub16HIPCUB_304000_NS18BlockScanAlgorithmE0EEvPKiPi.num_agpr, 0
	.set _Z20BlockPrefixSumKernelILi64ELi16ELN6hipcub16HIPCUB_304000_NS18BlockScanAlgorithmE0EEvPKiPi.numbered_sgpr, 6
	.set _Z20BlockPrefixSumKernelILi64ELi16ELN6hipcub16HIPCUB_304000_NS18BlockScanAlgorithmE0EEvPKiPi.num_named_barrier, 0
	.set _Z20BlockPrefixSumKernelILi64ELi16ELN6hipcub16HIPCUB_304000_NS18BlockScanAlgorithmE0EEvPKiPi.private_seg_size, 0
	.set _Z20BlockPrefixSumKernelILi64ELi16ELN6hipcub16HIPCUB_304000_NS18BlockScanAlgorithmE0EEvPKiPi.uses_vcc, 1
	.set _Z20BlockPrefixSumKernelILi64ELi16ELN6hipcub16HIPCUB_304000_NS18BlockScanAlgorithmE0EEvPKiPi.uses_flat_scratch, 0
	.set _Z20BlockPrefixSumKernelILi64ELi16ELN6hipcub16HIPCUB_304000_NS18BlockScanAlgorithmE0EEvPKiPi.has_dyn_sized_stack, 0
	.set _Z20BlockPrefixSumKernelILi64ELi16ELN6hipcub16HIPCUB_304000_NS18BlockScanAlgorithmE0EEvPKiPi.has_recursion, 0
	.set _Z20BlockPrefixSumKernelILi64ELi16ELN6hipcub16HIPCUB_304000_NS18BlockScanAlgorithmE0EEvPKiPi.has_indirect_call, 0
	.section	.AMDGPU.csdata,"",@progbits
; Kernel info:
; codeLenInByte = 1684
; TotalNumSgprs: 10
; NumVgprs: 40
; ScratchSize: 0
; MemoryBound: 0
; FloatMode: 240
; IeeeMode: 1
; LDSByteSize: 4224 bytes/workgroup (compile time only)
; SGPRBlocks: 8
; VGPRBlocks: 9
; NumSGPRsForWavesPerEU: 65
; NumVGPRsForWavesPerEU: 40
; Occupancy: 6
; WaveLimiterHint : 1
; COMPUTE_PGM_RSRC2:SCRATCH_EN: 0
; COMPUTE_PGM_RSRC2:USER_SGPR: 6
; COMPUTE_PGM_RSRC2:TRAP_HANDLER: 0
; COMPUTE_PGM_RSRC2:TGID_X_EN: 1
; COMPUTE_PGM_RSRC2:TGID_Y_EN: 0
; COMPUTE_PGM_RSRC2:TGID_Z_EN: 0
; COMPUTE_PGM_RSRC2:TIDIG_COMP_CNT: 0
	.section	.AMDGPU.gpr_maximums,"",@progbits
	.set amdgpu.max_num_vgpr, 0
	.set amdgpu.max_num_agpr, 0
	.set amdgpu.max_num_sgpr, 0
	.section	.AMDGPU.csdata,"",@progbits
	.type	__hip_cuid_b62c3d2d5c9cd9b3,@object ; @__hip_cuid_b62c3d2d5c9cd9b3
	.section	.bss,"aw",@nobits
	.globl	__hip_cuid_b62c3d2d5c9cd9b3
__hip_cuid_b62c3d2d5c9cd9b3:
	.byte	0                               ; 0x0
	.size	__hip_cuid_b62c3d2d5c9cd9b3, 1

	.ident	"AMD clang version 22.0.0git (https://github.com/RadeonOpenCompute/llvm-project roc-7.2.4 26084 f58b06dce1f9c15707c5f808fd002e18c2accf7e)"
	.section	".note.GNU-stack","",@progbits
	.addrsig
	.addrsig_sym __hip_cuid_b62c3d2d5c9cd9b3
	.amdgpu_metadata
---
amdhsa.kernels:
  - .args:
      - .address_space:  global
        .offset:         0
        .size:           8
        .value_kind:     global_buffer
      - .address_space:  global
        .offset:         8
        .size:           8
        .value_kind:     global_buffer
    .group_segment_fixed_size: 4224
    .kernarg_segment_align: 8
    .kernarg_segment_size: 16
    .language:       OpenCL C
    .language_version:
      - 2
      - 0
    .max_flat_workgroup_size: 1024
    .name:           _Z20BlockPrefixSumKernelILi1024ELi1ELN6hipcub16HIPCUB_304000_NS18BlockScanAlgorithmE1EEvPKiPi
    .private_segment_fixed_size: 0
    .sgpr_count:     10
    .sgpr_spill_count: 0
    .symbol:         _Z20BlockPrefixSumKernelILi1024ELi1ELN6hipcub16HIPCUB_304000_NS18BlockScanAlgorithmE1EEvPKiPi.kd
    .uniform_work_group_size: 1
    .uses_dynamic_stack: false
    .vgpr_count:     20
    .vgpr_spill_count: 0
    .wavefront_size: 64
  - .args:
      - .address_space:  global
        .offset:         0
        .size:           8
        .value_kind:     global_buffer
      - .address_space:  global
        .offset:         8
        .size:           8
        .value_kind:     global_buffer
    .group_segment_fixed_size: 4224
    .kernarg_segment_align: 8
    .kernarg_segment_size: 16
    .language:       OpenCL C
    .language_version:
      - 2
      - 0
    .max_flat_workgroup_size: 1024
    .name:           _Z20BlockPrefixSumKernelILi512ELi2ELN6hipcub16HIPCUB_304000_NS18BlockScanAlgorithmE1EEvPKiPi
    .private_segment_fixed_size: 0
    .sgpr_count:     10
    .sgpr_spill_count: 0
    .symbol:         _Z20BlockPrefixSumKernelILi512ELi2ELN6hipcub16HIPCUB_304000_NS18BlockScanAlgorithmE1EEvPKiPi.kd
    .uniform_work_group_size: 1
    .uses_dynamic_stack: false
    .vgpr_count:     20
    .vgpr_spill_count: 0
    .wavefront_size: 64
  - .args:
      - .address_space:  global
        .offset:         0
        .size:           8
        .value_kind:     global_buffer
      - .address_space:  global
        .offset:         8
        .size:           8
        .value_kind:     global_buffer
    .group_segment_fixed_size: 4224
    .kernarg_segment_align: 8
    .kernarg_segment_size: 16
    .language:       OpenCL C
    .language_version:
      - 2
      - 0
    .max_flat_workgroup_size: 1024
    .name:           _Z20BlockPrefixSumKernelILi256ELi4ELN6hipcub16HIPCUB_304000_NS18BlockScanAlgorithmE1EEvPKiPi
    .private_segment_fixed_size: 0
    .sgpr_count:     10
    .sgpr_spill_count: 0
    .symbol:         _Z20BlockPrefixSumKernelILi256ELi4ELN6hipcub16HIPCUB_304000_NS18BlockScanAlgorithmE1EEvPKiPi.kd
    .uniform_work_group_size: 1
    .uses_dynamic_stack: false
    .vgpr_count:     20
    .vgpr_spill_count: 0
    .wavefront_size: 64
  - .args:
      - .address_space:  global
        .offset:         0
        .size:           8
        .value_kind:     global_buffer
      - .address_space:  global
        .offset:         8
        .size:           8
        .value_kind:     global_buffer
    .group_segment_fixed_size: 4224
    .kernarg_segment_align: 8
    .kernarg_segment_size: 16
    .language:       OpenCL C
    .language_version:
      - 2
      - 0
    .max_flat_workgroup_size: 1024
    .name:           _Z20BlockPrefixSumKernelILi128ELi8ELN6hipcub16HIPCUB_304000_NS18BlockScanAlgorithmE1EEvPKiPi
    .private_segment_fixed_size: 0
    .sgpr_count:     10
    .sgpr_spill_count: 0
    .symbol:         _Z20BlockPrefixSumKernelILi128ELi8ELN6hipcub16HIPCUB_304000_NS18BlockScanAlgorithmE1EEvPKiPi.kd
    .uniform_work_group_size: 1
    .uses_dynamic_stack: false
    .vgpr_count:     30
    .vgpr_spill_count: 0
    .wavefront_size: 64
  - .args:
      - .address_space:  global
        .offset:         0
        .size:           8
        .value_kind:     global_buffer
      - .address_space:  global
        .offset:         8
        .size:           8
        .value_kind:     global_buffer
    .group_segment_fixed_size: 4224
    .kernarg_segment_align: 8
    .kernarg_segment_size: 16
    .language:       OpenCL C
    .language_version:
      - 2
      - 0
    .max_flat_workgroup_size: 1024
    .name:           _Z20BlockPrefixSumKernelILi64ELi16ELN6hipcub16HIPCUB_304000_NS18BlockScanAlgorithmE1EEvPKiPi
    .private_segment_fixed_size: 0
    .sgpr_count:     10
    .sgpr_spill_count: 0
    .symbol:         _Z20BlockPrefixSumKernelILi64ELi16ELN6hipcub16HIPCUB_304000_NS18BlockScanAlgorithmE1EEvPKiPi.kd
    .uniform_work_group_size: 1
    .uses_dynamic_stack: false
    .vgpr_count:     40
    .vgpr_spill_count: 0
    .wavefront_size: 64
  - .args:
      - .address_space:  global
        .offset:         0
        .size:           8
        .value_kind:     global_buffer
      - .address_space:  global
        .offset:         8
        .size:           8
        .value_kind:     global_buffer
    .group_segment_fixed_size: 4096
    .kernarg_segment_align: 8
    .kernarg_segment_size: 16
    .language:       OpenCL C
    .language_version:
      - 2
      - 0
    .max_flat_workgroup_size: 1024
    .name:           _Z20BlockPrefixSumKernelILi1024ELi1ELN6hipcub16HIPCUB_304000_NS18BlockScanAlgorithmE0EEvPKiPi
    .private_segment_fixed_size: 0
    .sgpr_count:     16
    .sgpr_spill_count: 0
    .symbol:         _Z20BlockPrefixSumKernelILi1024ELi1ELN6hipcub16HIPCUB_304000_NS18BlockScanAlgorithmE0EEvPKiPi.kd
    .uniform_work_group_size: 1
    .uses_dynamic_stack: false
    .vgpr_count:     11
    .vgpr_spill_count: 0
    .wavefront_size: 64
  - .args:
      - .address_space:  global
        .offset:         0
        .size:           8
        .value_kind:     global_buffer
      - .address_space:  global
        .offset:         8
        .size:           8
        .value_kind:     global_buffer
    .group_segment_fixed_size: 4224
    .kernarg_segment_align: 8
    .kernarg_segment_size: 16
    .language:       OpenCL C
    .language_version:
      - 2
      - 0
    .max_flat_workgroup_size: 1024
    .name:           _Z20BlockPrefixSumKernelILi512ELi2ELN6hipcub16HIPCUB_304000_NS18BlockScanAlgorithmE0EEvPKiPi
    .private_segment_fixed_size: 0
    .sgpr_count:     10
    .sgpr_spill_count: 0
    .symbol:         _Z20BlockPrefixSumKernelILi512ELi2ELN6hipcub16HIPCUB_304000_NS18BlockScanAlgorithmE0EEvPKiPi.kd
    .uniform_work_group_size: 1
    .uses_dynamic_stack: false
    .vgpr_count:     16
    .vgpr_spill_count: 0
    .wavefront_size: 64
  - .args:
      - .address_space:  global
        .offset:         0
        .size:           8
        .value_kind:     global_buffer
      - .address_space:  global
        .offset:         8
        .size:           8
        .value_kind:     global_buffer
    .group_segment_fixed_size: 4224
    .kernarg_segment_align: 8
    .kernarg_segment_size: 16
    .language:       OpenCL C
    .language_version:
      - 2
      - 0
    .max_flat_workgroup_size: 1024
    .name:           _Z20BlockPrefixSumKernelILi256ELi4ELN6hipcub16HIPCUB_304000_NS18BlockScanAlgorithmE0EEvPKiPi
    .private_segment_fixed_size: 0
    .sgpr_count:     10
    .sgpr_spill_count: 0
    .symbol:         _Z20BlockPrefixSumKernelILi256ELi4ELN6hipcub16HIPCUB_304000_NS18BlockScanAlgorithmE0EEvPKiPi.kd
    .uniform_work_group_size: 1
    .uses_dynamic_stack: false
    .vgpr_count:     21
    .vgpr_spill_count: 0
    .wavefront_size: 64
  - .args:
      - .address_space:  global
        .offset:         0
        .size:           8
        .value_kind:     global_buffer
      - .address_space:  global
        .offset:         8
        .size:           8
        .value_kind:     global_buffer
    .group_segment_fixed_size: 4224
    .kernarg_segment_align: 8
    .kernarg_segment_size: 16
    .language:       OpenCL C
    .language_version:
      - 2
      - 0
    .max_flat_workgroup_size: 1024
    .name:           _Z20BlockPrefixSumKernelILi128ELi8ELN6hipcub16HIPCUB_304000_NS18BlockScanAlgorithmE0EEvPKiPi
    .private_segment_fixed_size: 0
    .sgpr_count:     10
    .sgpr_spill_count: 0
    .symbol:         _Z20BlockPrefixSumKernelILi128ELi8ELN6hipcub16HIPCUB_304000_NS18BlockScanAlgorithmE0EEvPKiPi.kd
    .uniform_work_group_size: 1
    .uses_dynamic_stack: false
    .vgpr_count:     28
    .vgpr_spill_count: 0
    .wavefront_size: 64
  - .args:
      - .address_space:  global
        .offset:         0
        .size:           8
        .value_kind:     global_buffer
      - .address_space:  global
        .offset:         8
        .size:           8
        .value_kind:     global_buffer
    .group_segment_fixed_size: 4224
    .kernarg_segment_align: 8
    .kernarg_segment_size: 16
    .language:       OpenCL C
    .language_version:
      - 2
      - 0
    .max_flat_workgroup_size: 1024
    .name:           _Z20BlockPrefixSumKernelILi64ELi16ELN6hipcub16HIPCUB_304000_NS18BlockScanAlgorithmE0EEvPKiPi
    .private_segment_fixed_size: 0
    .sgpr_count:     10
    .sgpr_spill_count: 0
    .symbol:         _Z20BlockPrefixSumKernelILi64ELi16ELN6hipcub16HIPCUB_304000_NS18BlockScanAlgorithmE0EEvPKiPi.kd
    .uniform_work_group_size: 1
    .uses_dynamic_stack: false
    .vgpr_count:     40
    .vgpr_spill_count: 0
    .wavefront_size: 64
amdhsa.target:   amdgcn-amd-amdhsa--gfx906
amdhsa.version:
  - 1
  - 2
...

	.end_amdgpu_metadata
